;; amdgpu-corpus repo=ROCm/rocFFT kind=compiled arch=gfx906 opt=O3
	.text
	.amdgcn_target "amdgcn-amd-amdhsa--gfx906"
	.amdhsa_code_object_version 6
	.protected	bluestein_single_back_len250_dim1_half_op_CI_CI ; -- Begin function bluestein_single_back_len250_dim1_half_op_CI_CI
	.globl	bluestein_single_back_len250_dim1_half_op_CI_CI
	.p2align	8
	.type	bluestein_single_back_len250_dim1_half_op_CI_CI,@function
bluestein_single_back_len250_dim1_half_op_CI_CI: ; @bluestein_single_back_len250_dim1_half_op_CI_CI
; %bb.0:
	v_mul_u32_u24_e32 v1, 0xa3e, v0
	s_load_dwordx4 s[12:15], s[4:5], 0x28
	v_lshrrev_b32_e32 v1, 16, v1
	v_mad_u64_u32 v[16:17], s[0:1], s6, 5, v[1:2]
	v_mov_b32_e32 v17, 0
	s_waitcnt lgkmcnt(0)
	v_cmp_gt_u64_e32 vcc, s[12:13], v[16:17]
	s_and_saveexec_b64 s[0:1], vcc
	s_cbranch_execz .LBB0_2
; %bb.1:
	s_load_dwordx4 s[8:11], s[4:5], 0x18
	v_mul_lo_u16_e32 v1, 25, v1
	v_sub_u16_e32 v27, v0, v1
	v_mov_b32_e32 v7, s15
	v_lshlrev_b32_e32 v30, 2, v27
	s_waitcnt lgkmcnt(0)
	s_load_dwordx4 s[16:19], s[8:9], 0x0
	s_movk_i32 s12, 0x3b9c
	s_movk_i32 s15, 0x38b4
	;; [unrolled: 1-line block ×3, first 2 shown]
	s_waitcnt lgkmcnt(0)
	v_mad_u64_u32 v[0:1], s[0:1], s18, v16, 0
	v_mad_u64_u32 v[2:3], s[0:1], s16, v27, 0
	s_load_dwordx4 s[0:3], s[4:5], 0x0
	s_mul_i32 s8, s17, 0x64
	v_mad_u64_u32 v[4:5], s[6:7], s19, v16, v[1:2]
	s_mul_hi_u32 s9, s16, 0x64
	s_waitcnt lgkmcnt(0)
	global_load_dword v28, v30, s[0:1]
	v_mad_u64_u32 v[5:6], s[6:7], s17, v27, v[3:4]
	v_mov_b32_e32 v1, v4
	v_lshlrev_b64 v[0:1], 2, v[0:1]
	v_mov_b32_e32 v3, v5
	v_add_co_u32_e32 v4, vcc, s14, v0
	v_addc_co_u32_e32 v5, vcc, v7, v1, vcc
	v_lshlrev_b64 v[0:1], 2, v[2:3]
	s_add_u32 s6, s0, 0x3e8
	v_add_co_u32_e32 v0, vcc, v4, v0
	v_addc_co_u32_e32 v1, vcc, v5, v1, vcc
	global_load_dword v2, v[0:1], off
	s_addc_u32 s7, s1, 0
	s_add_i32 s8, s9, s8
	s_mul_i32 s9, s16, 0x64
	v_mov_b32_e32 v3, s8
	v_add_co_u32_e32 v0, vcc, s9, v0
	v_addc_co_u32_e32 v1, vcc, v1, v3, vcc
	global_load_dword v3, v[0:1], off
	global_load_dword v26, v30, s[0:1] offset:100
	v_mov_b32_e32 v4, s8
	v_add_co_u32_e32 v0, vcc, s9, v0
	v_addc_co_u32_e32 v1, vcc, v1, v4, vcc
	global_load_dword v4, v[0:1], off
	global_load_dword v25, v30, s[0:1] offset:200
	;; [unrolled: 5-line block ×6, first 2 shown]
	v_add_co_u32_e32 v0, vcc, s9, v0
	v_addc_co_u32_e32 v1, vcc, v1, v8, vcc
	global_load_dword v10, v[0:1], off
	global_load_dword v20, v30, s[0:1] offset:700
	v_add_co_u32_e32 v0, vcc, s9, v0
	v_addc_co_u32_e32 v1, vcc, v1, v8, vcc
	global_load_dword v11, v[0:1], off
	global_load_dword v18, v30, s[0:1] offset:800
	;; [unrolled: 4-line block ×3, first 2 shown]
	s_mov_b32 s8, 0xcccccccd
	v_mul_hi_u32 v0, v16, s8
	s_load_dwordx4 s[8:11], s[10:11], 0x0
	s_mov_b32 s16, 0xbb9c
	s_mov_b32 s14, 0xb8b4
	v_lshrrev_b32_e32 v0, 2, v0
	v_lshl_add_u32 v0, v0, 2, v0
	v_sub_u32_e32 v0, v16, v0
	v_mul_u32_u24_e32 v0, 0xfa, v0
	s_movk_i32 s17, 0x3a79
	s_movk_i32 s18, 0xcd
	s_load_dwordx2 s[4:5], s[4:5], 0x38
	s_waitcnt vmcnt(18)
	v_lshrrev_b32_e32 v1, 16, v2
	v_mul_f16_sdwa v8, v28, v1 dst_sel:DWORD dst_unused:UNUSED_PAD src0_sel:WORD_1 src1_sel:DWORD
	v_fma_f16 v13, v28, v2, v8
	v_lshlrev_b32_e32 v8, 2, v0
	v_mul_f16_sdwa v0, v28, v2 dst_sel:DWORD dst_unused:UNUSED_PAD src0_sel:WORD_1 src1_sel:DWORD
	v_fma_f16 v0, v28, v1, -v0
	v_pack_b32_f16 v0, v13, v0
	v_add_u32_e32 v19, v30, v8
	s_waitcnt vmcnt(17)
	v_lshrrev_b32_e32 v1, 16, v3
	s_waitcnt vmcnt(16)
	v_mul_f16_sdwa v2, v26, v1 dst_sel:DWORD dst_unused:UNUSED_PAD src0_sel:WORD_1 src1_sel:DWORD
	v_fma_f16 v2, v26, v3, v2
	v_mul_f16_sdwa v3, v26, v3 dst_sel:DWORD dst_unused:UNUSED_PAD src0_sel:WORD_1 src1_sel:DWORD
	v_fma_f16 v1, v26, v1, -v3
	v_pack_b32_f16 v1, v2, v1
	ds_write2_b32 v19, v0, v1 offset1:25
	s_waitcnt vmcnt(15)
	v_lshrrev_b32_e32 v0, 16, v4
	s_waitcnt vmcnt(14)
	v_mul_f16_sdwa v1, v25, v0 dst_sel:DWORD dst_unused:UNUSED_PAD src0_sel:WORD_1 src1_sel:DWORD
	v_mul_f16_sdwa v2, v25, v4 dst_sel:DWORD dst_unused:UNUSED_PAD src0_sel:WORD_1 src1_sel:DWORD
	v_fma_f16 v1, v25, v4, v1
	v_fma_f16 v0, v25, v0, -v2
	v_pack_b32_f16 v0, v1, v0
	s_waitcnt vmcnt(13)
	v_lshrrev_b32_e32 v1, 16, v5
	s_waitcnt vmcnt(12)
	v_mul_f16_sdwa v2, v24, v1 dst_sel:DWORD dst_unused:UNUSED_PAD src0_sel:WORD_1 src1_sel:DWORD
	v_mul_f16_sdwa v3, v24, v5 dst_sel:DWORD dst_unused:UNUSED_PAD src0_sel:WORD_1 src1_sel:DWORD
	v_fma_f16 v2, v24, v5, v2
	v_fma_f16 v1, v24, v1, -v3
	v_pack_b32_f16 v1, v2, v1
	ds_write2_b32 v19, v0, v1 offset0:50 offset1:75
	s_waitcnt vmcnt(11)
	v_lshrrev_b32_e32 v0, 16, v6
	s_waitcnt vmcnt(10)
	v_mul_f16_sdwa v1, v23, v0 dst_sel:DWORD dst_unused:UNUSED_PAD src0_sel:WORD_1 src1_sel:DWORD
	v_mul_f16_sdwa v2, v23, v6 dst_sel:DWORD dst_unused:UNUSED_PAD src0_sel:WORD_1 src1_sel:DWORD
	v_fma_f16 v1, v23, v6, v1
	v_fma_f16 v0, v23, v0, -v2
	v_pack_b32_f16 v0, v1, v0
	s_waitcnt vmcnt(9)
	v_lshrrev_b32_e32 v1, 16, v7
	s_waitcnt vmcnt(8)
	v_mul_f16_sdwa v2, v22, v1 dst_sel:DWORD dst_unused:UNUSED_PAD src0_sel:WORD_1 src1_sel:DWORD
	v_mul_f16_sdwa v3, v22, v7 dst_sel:DWORD dst_unused:UNUSED_PAD src0_sel:WORD_1 src1_sel:DWORD
	v_fma_f16 v2, v22, v7, v2
	v_fma_f16 v1, v22, v1, -v3
	v_pack_b32_f16 v1, v2, v1
	ds_write2_b32 v19, v0, v1 offset0:100 offset1:125
	;; [unrolled: 17-line block ×4, first 2 shown]
	s_waitcnt lgkmcnt(0)
	s_barrier
	ds_read2_b32 v[1:2], v19 offset1:25
	ds_read2_b32 v[3:4], v19 offset0:100 offset1:125
	ds_read2_b32 v[5:6], v19 offset0:150 offset1:175
	;; [unrolled: 1-line block ×4, first 2 shown]
	v_mul_lo_u16_e32 v0, 10, v27
	v_lshl_add_u32 v29, v0, 2, v8
	s_waitcnt lgkmcnt(2)
	v_add_f16_e32 v0, v3, v5
	v_fma_f16 v0, v0, -0.5, v1
	s_waitcnt lgkmcnt(0)
	v_sub_f16_sdwa v7, v9, v11 dst_sel:DWORD dst_unused:UNUSED_PAD src0_sel:WORD_1 src1_sel:WORD_1
	v_fma_f16 v13, v7, s12, v0
	v_sub_f16_sdwa v14, v3, v5 dst_sel:DWORD dst_unused:UNUSED_PAD src0_sel:WORD_1 src1_sel:WORD_1
	v_sub_f16_e32 v15, v11, v5
	v_sub_f16_e32 v31, v9, v3
	v_fma_f16 v0, v7, s16, v0
	v_fma_f16 v13, v14, s15, v13
	v_add_f16_e32 v15, v31, v15
	v_fma_f16 v0, v14, s14, v0
	v_fma_f16 v13, v15, s13, v13
	;; [unrolled: 1-line block ×3, first 2 shown]
	v_add_f16_e32 v0, v9, v11
	v_fma_f16 v0, v0, -0.5, v1
	v_fma_f16 v31, v14, s16, v0
	v_sub_f16_e32 v32, v5, v11
	v_sub_f16_e32 v33, v3, v9
	v_fma_f16 v0, v14, s12, v0
	v_add_f16_e32 v32, v33, v32
	v_fma_f16 v0, v7, s14, v0
	v_fma_f16 v31, v7, s15, v31
	;; [unrolled: 1-line block ×3, first 2 shown]
	v_pk_add_f16 v0, v1, v9
	v_add_f16_sdwa v14, v3, v5 dst_sel:DWORD dst_unused:UNUSED_PAD src0_sel:WORD_1 src1_sel:WORD_1
	v_lshrrev_b32_e32 v1, 16, v1
	v_fma_f16 v31, v32, s13, v31
	v_fma_f16 v14, v14, -0.5, v1
	v_sub_f16_e32 v32, v9, v11
	v_fma_f16 v33, v32, s16, v14
	v_sub_f16_e32 v34, v3, v5
	v_sub_f16_sdwa v35, v9, v3 dst_sel:DWORD dst_unused:UNUSED_PAD src0_sel:WORD_1 src1_sel:WORD_1
	v_sub_f16_sdwa v36, v11, v5 dst_sel:DWORD dst_unused:UNUSED_PAD src0_sel:WORD_1 src1_sel:WORD_1
	v_fma_f16 v14, v32, s12, v14
	v_fma_f16 v33, v34, s14, v33
	v_add_f16_e32 v35, v35, v36
	v_fma_f16 v14, v34, s15, v14
	v_fma_f16 v33, v35, s13, v33
	;; [unrolled: 1-line block ×3, first 2 shown]
	v_add_f16_sdwa v35, v9, v11 dst_sel:DWORD dst_unused:UNUSED_PAD src0_sel:WORD_1 src1_sel:WORD_1
	v_pk_add_f16 v0, v0, v3
	v_fma_f16 v1, v35, -0.5, v1
	v_pk_add_f16 v0, v0, v5
	v_fma_f16 v35, v34, s12, v1
	v_sub_f16_sdwa v3, v3, v9 dst_sel:DWORD dst_unused:UNUSED_PAD src0_sel:WORD_1 src1_sel:WORD_1
	v_sub_f16_sdwa v5, v5, v11 dst_sel:DWORD dst_unused:UNUSED_PAD src0_sel:WORD_1 src1_sel:WORD_1
	v_fma_f16 v1, v34, s16, v1
	v_fma_f16 v35, v32, s14, v35
	v_add_f16_e32 v3, v3, v5
	v_fma_f16 v1, v32, s15, v1
	v_fma_f16 v5, v3, s13, v35
	;; [unrolled: 1-line block ×3, first 2 shown]
	v_add_f16_e32 v1, v4, v6
	v_fma_f16 v1, v1, -0.5, v2
	v_sub_f16_sdwa v9, v10, v12 dst_sel:DWORD dst_unused:UNUSED_PAD src0_sel:WORD_1 src1_sel:WORD_1
	v_pk_add_f16 v0, v0, v11
	v_fma_f16 v11, v9, s12, v1
	v_sub_f16_sdwa v32, v4, v6 dst_sel:DWORD dst_unused:UNUSED_PAD src0_sel:WORD_1 src1_sel:WORD_1
	v_sub_f16_e32 v34, v12, v6
	v_sub_f16_e32 v35, v10, v4
	v_fma_f16 v1, v9, s16, v1
	v_fma_f16 v11, v32, s15, v11
	v_add_f16_e32 v34, v35, v34
	v_fma_f16 v1, v32, s14, v1
	v_fma_f16 v11, v34, s13, v11
	;; [unrolled: 1-line block ×3, first 2 shown]
	v_add_f16_e32 v1, v10, v12
	v_fma_f16 v1, v1, -0.5, v2
	v_fma_f16 v35, v32, s16, v1
	v_sub_f16_e32 v36, v6, v12
	v_sub_f16_e32 v37, v4, v10
	v_fma_f16 v1, v32, s12, v1
	v_add_f16_e32 v36, v37, v36
	v_fma_f16 v1, v9, s14, v1
	v_fma_f16 v35, v9, s15, v35
	;; [unrolled: 1-line block ×3, first 2 shown]
	v_pk_add_f16 v1, v2, v10
	v_pk_add_f16 v1, v1, v4
	;; [unrolled: 1-line block ×4, first 2 shown]
	v_add_f16_sdwa v1, v4, v6 dst_sel:DWORD dst_unused:UNUSED_PAD src0_sel:WORD_1 src1_sel:WORD_1
	v_lshrrev_b32_e32 v2, 16, v2
	v_fma_f16 v35, v36, s13, v35
	v_fma_f16 v1, v1, -0.5, v2
	v_sub_f16_e32 v36, v10, v12
	v_fma_f16 v37, v36, s16, v1
	v_sub_f16_e32 v38, v4, v6
	v_sub_f16_sdwa v39, v10, v4 dst_sel:DWORD dst_unused:UNUSED_PAD src0_sel:WORD_1 src1_sel:WORD_1
	v_sub_f16_sdwa v40, v12, v6 dst_sel:DWORD dst_unused:UNUSED_PAD src0_sel:WORD_1 src1_sel:WORD_1
	v_fma_f16 v1, v36, s12, v1
	v_fma_f16 v37, v38, s14, v37
	v_add_f16_e32 v39, v39, v40
	v_fma_f16 v1, v38, s15, v1
	v_fma_f16 v37, v39, s13, v37
	;; [unrolled: 1-line block ×3, first 2 shown]
	v_add_f16_sdwa v1, v10, v12 dst_sel:DWORD dst_unused:UNUSED_PAD src0_sel:WORD_1 src1_sel:WORD_1
	v_fma_f16 v1, v1, -0.5, v2
	v_fma_f16 v2, v38, s12, v1
	v_sub_f16_sdwa v4, v4, v10 dst_sel:DWORD dst_unused:UNUSED_PAD src0_sel:WORD_1 src1_sel:WORD_1
	v_sub_f16_sdwa v6, v6, v12 dst_sel:DWORD dst_unused:UNUSED_PAD src0_sel:WORD_1 src1_sel:WORD_1
	v_fma_f16 v1, v38, s16, v1
	v_fma_f16 v2, v36, s14, v2
	v_add_f16_e32 v4, v4, v6
	v_fma_f16 v1, v36, s15, v1
	v_fma_f16 v2, v4, s13, v2
	v_fma_f16 v4, v4, s13, v1
	v_mul_f16_e32 v1, 0x3a79, v11
	v_fma_f16 v6, v37, s15, v1
	v_mul_f16_e32 v1, 0x3b9c, v2
	v_fma_f16 v12, v35, s13, v1
	;; [unrolled: 2-line block ×3, first 2 shown]
	v_mul_f16_e32 v1, 0xba79, v34
	v_mul_f16_e32 v11, 0xb8b4, v11
	;; [unrolled: 1-line block ×4, first 2 shown]
	v_fma_f16 v41, v39, s15, v1
	v_fma_f16 v11, v37, s17, v11
	;; [unrolled: 1-line block ×4, first 2 shown]
	v_mul_f16_e32 v39, 0xba79, v39
	v_add_f16_e32 v10, v13, v6
	v_add_f16_e32 v36, v31, v12
	v_add_f16_e32 v40, v7, v38
	v_add_f16_e32 v37, v33, v11
	v_add_f16_e32 v35, v5, v2
	v_add_f16_e32 v9, v3, v4
	v_fma_f16 v34, v34, s14, v39
	v_add_f16_e32 v42, v15, v41
	v_pk_add_f16 v1, v0, v32
	v_add_f16_e32 v39, v14, v34
	v_sub_f16_e32 v6, v13, v6
	v_sub_f16_e32 v12, v31, v12
	;; [unrolled: 1-line block ×6, first 2 shown]
	v_pack_b32_f16 v2, v10, v37
	v_pack_b32_f16 v4, v40, v9
	;; [unrolled: 1-line block ×3, first 2 shown]
	v_sub_f16_e32 v7, v7, v38
	v_sub_f16_e32 v14, v14, v34
	s_barrier
	ds_write2_b64 v29, v[1:2], v[3:4] offset1:1
	v_pk_add_f16 v1, v0, v32 neg_lo:[0,1] neg_hi:[0,1]
	v_pack_b32_f16 v2, v6, v11
	v_pack_b32_f16 v3, v12, v5
	;; [unrolled: 1-line block ×3, first 2 shown]
	ds_write2_b64 v29, v[0:1], v[2:3] offset0:2 offset1:3
	v_pack_b32_f16 v1, v13, v14
	v_pack_b32_f16 v0, v7, v15
	ds_write_b64 v29, v[0:1] offset:32
	v_mul_lo_u16_sdwa v0, v27, s18 dst_sel:DWORD dst_unused:UNUSED_PAD src0_sel:BYTE_0 src1_sel:DWORD
	v_lshrrev_b16_e32 v15, 11, v0
	v_mul_lo_u16_e32 v0, 10, v15
	v_sub_u16_e32 v39, v27, v0
	v_lshlrev_b16_e32 v0, 2, v39
	v_and_b32_e32 v0, 0xfc, v0
	v_lshlrev_b32_e32 v0, 2, v0
	s_waitcnt lgkmcnt(0)
	s_barrier
	global_load_dwordx4 v[0:3], v0, s[2:3]
	v_add_co_u32_e32 v12, vcc, 25, v27
	v_mul_lo_u16_sdwa v4, v12, s18 dst_sel:DWORD dst_unused:UNUSED_PAD src0_sel:BYTE_0 src1_sel:DWORD
	v_lshrrev_b16_e32 v9, 11, v4
	v_mul_lo_u16_e32 v4, 10, v9
	v_sub_u16_e32 v10, v12, v4
	v_mov_b32_e32 v4, 4
	v_lshlrev_b32_sdwa v4, v4, v10 dst_sel:DWORD dst_unused:UNUSED_PAD src0_sel:DWORD src1_sel:BYTE_0
	global_load_dwordx4 v[4:7], v4, s[2:3]
	ds_read2_b32 v[13:14], v19 offset1:25
	ds_read2_b32 v[31:32], v19 offset0:50 offset1:75
	ds_read2_b32 v[33:34], v19 offset0:100 offset1:125
	;; [unrolled: 1-line block ×4, first 2 shown]
	s_waitcnt lgkmcnt(4)
	v_lshrrev_b32_e32 v40, 16, v13
	s_waitcnt lgkmcnt(3)
	v_lshrrev_b32_e32 v11, 16, v31
	;; [unrolled: 2-line block ×5, first 2 shown]
	v_lshrrev_b32_e32 v45, 16, v32
	v_lshrrev_b32_e32 v46, 16, v34
	;; [unrolled: 1-line block ×5, first 2 shown]
	v_mad_legacy_u16 v15, v15, 50, v39
	v_and_b32_e32 v15, 0xff, v15
	v_mul_u32_u24_e32 v9, 50, v9
	v_add_u32_sdwa v9, v9, v10 dst_sel:DWORD dst_unused:UNUSED_PAD src0_sel:DWORD src1_sel:BYTE_0
	s_waitcnt vmcnt(0)
	s_barrier
	v_lshlrev_b32_e32 v12, 4, v12
	v_mul_f16_sdwa v49, v11, v0 dst_sel:DWORD dst_unused:UNUSED_PAD src0_sel:DWORD src1_sel:WORD_1
	v_fma_f16 v49, v31, v0, -v49
	v_mul_f16_sdwa v31, v31, v0 dst_sel:DWORD dst_unused:UNUSED_PAD src0_sel:DWORD src1_sel:WORD_1
	v_fma_f16 v31, v11, v0, v31
	v_mul_f16_sdwa v11, v41, v1 dst_sel:DWORD dst_unused:UNUSED_PAD src0_sel:DWORD src1_sel:WORD_1
	v_fma_f16 v50, v33, v1, -v11
	v_mul_f16_sdwa v11, v33, v1 dst_sel:DWORD dst_unused:UNUSED_PAD src0_sel:DWORD src1_sel:WORD_1
	v_fma_f16 v33, v41, v1, v11
	v_mul_f16_sdwa v11, v42, v2 dst_sel:DWORD dst_unused:UNUSED_PAD src0_sel:DWORD src1_sel:WORD_1
	v_fma_f16 v41, v35, v2, -v11
	v_mul_f16_sdwa v11, v35, v2 dst_sel:DWORD dst_unused:UNUSED_PAD src0_sel:DWORD src1_sel:WORD_1
	v_fma_f16 v35, v42, v2, v11
	v_mul_f16_sdwa v11, v43, v3 dst_sel:DWORD dst_unused:UNUSED_PAD src0_sel:DWORD src1_sel:WORD_1
	v_fma_f16 v42, v37, v3, -v11
	v_mul_f16_sdwa v11, v37, v3 dst_sel:DWORD dst_unused:UNUSED_PAD src0_sel:DWORD src1_sel:WORD_1
	v_fma_f16 v37, v43, v3, v11
	v_mul_f16_sdwa v11, v45, v4 dst_sel:DWORD dst_unused:UNUSED_PAD src0_sel:DWORD src1_sel:WORD_1
	v_fma_f16 v43, v32, v4, -v11
	v_mul_f16_sdwa v11, v32, v4 dst_sel:DWORD dst_unused:UNUSED_PAD src0_sel:DWORD src1_sel:WORD_1
	v_fma_f16 v32, v45, v4, v11
	v_mul_f16_sdwa v11, v46, v5 dst_sel:DWORD dst_unused:UNUSED_PAD src0_sel:DWORD src1_sel:WORD_1
	v_fma_f16 v45, v34, v5, -v11
	v_mul_f16_sdwa v11, v34, v5 dst_sel:DWORD dst_unused:UNUSED_PAD src0_sel:DWORD src1_sel:WORD_1
	v_fma_f16 v34, v46, v5, v11
	v_mul_f16_sdwa v11, v47, v6 dst_sel:DWORD dst_unused:UNUSED_PAD src0_sel:DWORD src1_sel:WORD_1
	v_fma_f16 v46, v36, v6, -v11
	v_mul_f16_sdwa v11, v36, v6 dst_sel:DWORD dst_unused:UNUSED_PAD src0_sel:DWORD src1_sel:WORD_1
	v_fma_f16 v36, v47, v6, v11
	v_mul_f16_sdwa v11, v48, v7 dst_sel:DWORD dst_unused:UNUSED_PAD src0_sel:DWORD src1_sel:WORD_1
	v_fma_f16 v47, v38, v7, -v11
	v_mul_f16_sdwa v11, v38, v7 dst_sel:DWORD dst_unused:UNUSED_PAD src0_sel:DWORD src1_sel:WORD_1
	v_fma_f16 v38, v48, v7, v11
	v_add_f16_e32 v11, v13, v49
	v_add_f16_e32 v11, v11, v50
	;; [unrolled: 1-line block ×5, first 2 shown]
	v_fma_f16 v11, v11, -0.5, v13
	v_sub_f16_e32 v51, v31, v37
	v_fma_f16 v52, v51, s12, v11
	v_sub_f16_e32 v53, v33, v35
	v_sub_f16_e32 v54, v49, v50
	;; [unrolled: 1-line block ×3, first 2 shown]
	v_fma_f16 v11, v51, s16, v11
	v_fma_f16 v52, v53, s15, v52
	v_add_f16_e32 v54, v54, v55
	v_fma_f16 v11, v53, s14, v11
	v_fma_f16 v52, v54, s13, v52
	;; [unrolled: 1-line block ×3, first 2 shown]
	v_add_f16_e32 v54, v49, v42
	v_fma_f16 v13, v54, -0.5, v13
	v_fma_f16 v54, v53, s16, v13
	v_sub_f16_e32 v55, v50, v49
	v_sub_f16_e32 v56, v41, v42
	v_fma_f16 v13, v53, s12, v13
	v_add_f16_e32 v53, v33, v35
	v_fma_f16 v54, v51, s15, v54
	v_add_f16_e32 v55, v55, v56
	v_fma_f16 v13, v51, s14, v13
	v_fma_f16 v53, v53, -0.5, v40
	v_sub_f16_e32 v42, v49, v42
	v_fma_f16 v54, v55, s13, v54
	v_fma_f16 v13, v55, s13, v13
	;; [unrolled: 1-line block ×3, first 2 shown]
	v_sub_f16_e32 v41, v50, v41
	v_sub_f16_e32 v50, v31, v33
	;; [unrolled: 1-line block ×3, first 2 shown]
	v_fma_f16 v53, v42, s12, v53
	v_fma_f16 v49, v41, s14, v49
	v_add_f16_e32 v50, v50, v55
	v_fma_f16 v53, v41, s15, v53
	v_add_f16_e32 v51, v40, v31
	v_fma_f16 v49, v50, s13, v49
	v_fma_f16 v50, v50, s13, v53
	v_add_f16_e32 v53, v31, v37
	v_add_f16_e32 v51, v51, v33
	v_fma_f16 v40, v53, -0.5, v40
	v_add_f16_e32 v51, v51, v35
	v_fma_f16 v53, v41, s12, v40
	v_sub_f16_e32 v31, v33, v31
	v_sub_f16_e32 v33, v35, v37
	v_fma_f16 v35, v41, s16, v40
	v_fma_f16 v53, v42, s14, v53
	v_add_f16_e32 v31, v31, v33
	v_fma_f16 v35, v42, s15, v35
	v_fma_f16 v33, v31, s13, v53
	;; [unrolled: 1-line block ×3, first 2 shown]
	v_add_f16_e32 v31, v14, v43
	v_add_f16_e32 v31, v31, v45
	;; [unrolled: 1-line block ×6, first 2 shown]
	v_fma_f16 v31, v31, -0.5, v14
	v_sub_f16_e32 v40, v32, v38
	v_fma_f16 v41, v40, s12, v31
	v_sub_f16_e32 v42, v34, v36
	v_sub_f16_e32 v53, v43, v45
	v_sub_f16_e32 v55, v47, v46
	v_fma_f16 v31, v40, s16, v31
	v_fma_f16 v41, v42, s15, v41
	v_add_f16_e32 v53, v53, v55
	v_fma_f16 v31, v42, s14, v31
	v_fma_f16 v41, v53, s13, v41
	;; [unrolled: 1-line block ×3, first 2 shown]
	v_add_f16_e32 v31, v43, v47
	v_fma_f16 v14, v31, -0.5, v14
	v_fma_f16 v31, v42, s16, v14
	v_sub_f16_e32 v55, v45, v43
	v_sub_f16_e32 v56, v46, v47
	v_fma_f16 v31, v40, s15, v31
	v_add_f16_e32 v55, v55, v56
	v_fma_f16 v56, v55, s13, v31
	v_add_f16_e32 v31, v44, v32
	v_add_f16_e32 v31, v31, v34
	v_fma_f16 v14, v42, s12, v14
	v_add_f16_e32 v31, v31, v36
	v_fma_f16 v14, v40, s14, v14
	v_add_f16_e32 v40, v31, v38
	v_add_f16_e32 v31, v34, v36
	v_fma_f16 v31, v31, -0.5, v44
	v_sub_f16_e32 v42, v43, v47
	v_fma_f16 v43, v42, s16, v31
	v_sub_f16_e32 v45, v45, v46
	v_sub_f16_e32 v46, v32, v34
	;; [unrolled: 1-line block ×3, first 2 shown]
	v_fma_f16 v31, v42, s12, v31
	v_fma_f16 v43, v45, s14, v43
	v_add_f16_e32 v46, v46, v47
	v_fma_f16 v31, v45, s15, v31
	v_fma_f16 v43, v46, s13, v43
	v_fma_f16 v46, v46, s13, v31
	v_add_f16_e32 v31, v32, v38
	v_fma_f16 v31, v31, -0.5, v44
	v_fma_f16 v44, v45, s12, v31
	v_sub_f16_e32 v32, v34, v32
	v_sub_f16_e32 v34, v36, v38
	v_fma_f16 v31, v45, s16, v31
	v_fma_f16 v44, v42, s14, v44
	v_add_f16_e32 v32, v32, v34
	v_fma_f16 v31, v42, s15, v31
	v_fma_f16 v34, v32, s13, v44
	;; [unrolled: 1-line block ×3, first 2 shown]
	v_lshl_add_u32 v31, v15, 2, v8
	v_pack_b32_f16 v15, v48, v51
	v_pack_b32_f16 v32, v52, v49
	v_fma_f16 v14, v55, s13, v14
	ds_write2_b32 v31, v15, v32 offset1:10
	v_pack_b32_f16 v15, v54, v33
	v_pack_b32_f16 v13, v13, v35
	;; [unrolled: 1-line block ×3, first 2 shown]
	v_lshl_add_u32 v32, v9, 2, v8
	v_pack_b32_f16 v8, v37, v40
	v_pack_b32_f16 v9, v41, v43
	ds_write2_b32 v31, v15, v13 offset0:20 offset1:30
	ds_write_b32 v31, v11 offset:160
	ds_write2_b32 v32, v8, v9 offset1:10
	v_pack_b32_f16 v8, v56, v34
	v_pack_b32_f16 v9, v14, v36
	ds_write2_b32 v32, v8, v9 offset0:20 offset1:30
	v_pack_b32_f16 v8, v53, v46
	ds_write_b32 v32, v8 offset:160
	v_lshlrev_b32_e32 v8, 4, v27
	s_waitcnt lgkmcnt(0)
	s_barrier
	global_load_dwordx4 v[8:11], v8, s[2:3] offset:160
	s_nop 0
	global_load_dwordx4 v[12:15], v12, s[2:3] offset:160
	ds_read2_b32 v[33:34], v19 offset1:25
	ds_read2_b32 v[35:36], v19 offset0:50 offset1:75
	ds_read2_b32 v[37:38], v19 offset0:100 offset1:125
	;; [unrolled: 1-line block ×4, first 2 shown]
	s_waitcnt lgkmcnt(4)
	v_lshrrev_b32_e32 v43, 16, v33
	s_waitcnt lgkmcnt(3)
	v_lshrrev_b32_e32 v44, 16, v35
	;; [unrolled: 2-line block ×5, first 2 shown]
	v_lshrrev_b32_e32 v48, 16, v36
	v_lshrrev_b32_e32 v49, 16, v38
	;; [unrolled: 1-line block ×4, first 2 shown]
	s_mov_b32 s2, 0xd2f1a9fc
	s_mov_b32 s3, 0x3f70624d
	s_waitcnt vmcnt(1)
	v_mul_f16_sdwa v52, v44, v8 dst_sel:DWORD dst_unused:UNUSED_PAD src0_sel:DWORD src1_sel:WORD_1
	v_fma_f16 v52, v35, v8, -v52
	v_mul_f16_sdwa v35, v35, v8 dst_sel:DWORD dst_unused:UNUSED_PAD src0_sel:DWORD src1_sel:WORD_1
	v_fma_f16 v35, v44, v8, v35
	v_mul_f16_sdwa v44, v45, v9 dst_sel:DWORD dst_unused:UNUSED_PAD src0_sel:DWORD src1_sel:WORD_1
	v_fma_f16 v44, v37, v9, -v44
	v_mul_f16_sdwa v37, v37, v9 dst_sel:DWORD dst_unused:UNUSED_PAD src0_sel:DWORD src1_sel:WORD_1
	v_fma_f16 v37, v45, v9, v37
	v_mul_f16_sdwa v45, v46, v10 dst_sel:DWORD dst_unused:UNUSED_PAD src0_sel:DWORD src1_sel:WORD_1
	v_fma_f16 v45, v39, v10, -v45
	v_mul_f16_sdwa v39, v39, v10 dst_sel:DWORD dst_unused:UNUSED_PAD src0_sel:DWORD src1_sel:WORD_1
	v_fma_f16 v39, v46, v10, v39
	v_mul_f16_sdwa v46, v47, v11 dst_sel:DWORD dst_unused:UNUSED_PAD src0_sel:DWORD src1_sel:WORD_1
	v_fma_f16 v46, v41, v11, -v46
	v_mul_f16_sdwa v41, v41, v11 dst_sel:DWORD dst_unused:UNUSED_PAD src0_sel:DWORD src1_sel:WORD_1
	v_fma_f16 v41, v47, v11, v41
	s_waitcnt vmcnt(0)
	v_mul_f16_sdwa v47, v48, v12 dst_sel:DWORD dst_unused:UNUSED_PAD src0_sel:DWORD src1_sel:WORD_1
	v_fma_f16 v47, v36, v12, -v47
	v_mul_f16_sdwa v36, v36, v12 dst_sel:DWORD dst_unused:UNUSED_PAD src0_sel:DWORD src1_sel:WORD_1
	v_fma_f16 v36, v48, v12, v36
	v_mul_f16_sdwa v48, v49, v13 dst_sel:DWORD dst_unused:UNUSED_PAD src0_sel:DWORD src1_sel:WORD_1
	v_fma_f16 v48, v38, v13, -v48
	v_mul_f16_sdwa v38, v38, v13 dst_sel:DWORD dst_unused:UNUSED_PAD src0_sel:DWORD src1_sel:WORD_1
	v_fma_f16 v38, v49, v13, v38
	;; [unrolled: 4-line block ×4, first 2 shown]
	v_add_f16_e32 v51, v44, v45
	v_fma_f16 v51, v51, -0.5, v33
	v_sub_f16_e32 v53, v35, v41
	v_fma_f16 v54, v53, s12, v51
	v_sub_f16_e32 v55, v37, v39
	v_sub_f16_e32 v56, v52, v44
	v_sub_f16_e32 v57, v46, v45
	v_fma_f16 v51, v53, s16, v51
	v_fma_f16 v54, v55, s15, v54
	v_add_f16_e32 v56, v56, v57
	v_fma_f16 v51, v55, s14, v51
	v_fma_f16 v54, v56, s13, v54
	;; [unrolled: 1-line block ×3, first 2 shown]
	v_add_f16_e32 v56, v52, v46
	v_fma_f16 v56, v56, -0.5, v33
	v_sub_f16_e32 v57, v44, v52
	v_sub_f16_e32 v58, v45, v46
	v_add_f16_e32 v57, v57, v58
	v_fma_f16 v58, v55, s16, v56
	v_fma_f16 v55, v55, s12, v56
	v_add_f16_e32 v33, v33, v52
	v_fma_f16 v58, v53, s15, v58
	v_fma_f16 v53, v53, s14, v55
	v_add_f16_e32 v33, v33, v44
	v_add_f16_e32 v33, v33, v45
	v_fma_f16 v55, v57, s13, v58
	v_fma_f16 v53, v57, s13, v53
	v_add_f16_e32 v57, v37, v39
	v_add_f16_e32 v33, v33, v46
	v_fma_f16 v57, v57, -0.5, v43
	v_sub_f16_e32 v46, v52, v46
	v_sub_f16_e32 v44, v44, v45
	v_sub_f16_e32 v45, v35, v37
	v_sub_f16_e32 v52, v41, v39
	v_add_f16_e32 v45, v45, v52
	v_fma_f16 v52, v46, s16, v57
	v_fma_f16 v57, v46, s12, v57
	;; [unrolled: 1-line block ×6, first 2 shown]
	v_add_f16_e32 v57, v35, v41
	v_fma_f16 v57, v57, -0.5, v43
	v_add_f16_e32 v43, v43, v35
	v_add_f16_e32 v43, v43, v37
	;; [unrolled: 1-line block ×3, first 2 shown]
	v_sub_f16_e32 v35, v37, v35
	v_sub_f16_e32 v39, v39, v41
	v_fma_f16 v37, v44, s12, v57
	v_add_f16_e32 v35, v35, v39
	v_fma_f16 v39, v44, s16, v57
	v_add_f16_e32 v43, v43, v41
	v_fma_f16 v37, v46, s14, v37
	v_fma_f16 v39, v46, s15, v39
	v_add_f16_e32 v41, v48, v49
	v_add_f16_e32 v57, v47, v50
	v_lshrrev_b32_e32 v56, 16, v34
	v_fma_f16 v37, v35, s13, v37
	v_fma_f16 v35, v35, s13, v39
	v_add_f16_e32 v39, v34, v47
	v_fma_f16 v41, v41, -0.5, v34
	v_sub_f16_e32 v44, v36, v42
	v_fma_f16 v34, v57, -0.5, v34
	v_sub_f16_e32 v57, v47, v48
	v_sub_f16_e32 v58, v50, v49
	v_fma_f16 v46, v44, s12, v41
	v_add_f16_e32 v57, v57, v58
	v_sub_f16_e32 v58, v38, v40
	v_fma_f16 v41, v44, s16, v41
	v_fma_f16 v46, v58, s15, v46
	;; [unrolled: 1-line block ×5, first 2 shown]
	v_sub_f16_e32 v57, v48, v47
	v_sub_f16_e32 v59, v49, v50
	v_add_f16_e32 v57, v57, v59
	v_fma_f16 v59, v58, s16, v34
	v_fma_f16 v34, v58, s12, v34
	v_add_f16_e32 v39, v39, v48
	v_fma_f16 v58, v44, s15, v59
	v_fma_f16 v34, v44, s14, v34
	;; [unrolled: 3-line block ×3, first 2 shown]
	v_add_f16_e32 v57, v38, v40
	v_add_f16_e32 v39, v39, v50
	v_fma_f16 v57, v57, -0.5, v56
	v_sub_f16_e32 v47, v47, v50
	v_sub_f16_e32 v48, v48, v49
	;; [unrolled: 1-line block ×4, first 2 shown]
	v_add_f16_e32 v49, v49, v50
	v_fma_f16 v50, v47, s16, v57
	v_fma_f16 v57, v47, s12, v57
	;; [unrolled: 1-line block ×4, first 2 shown]
	v_add_f16_e32 v44, v56, v36
	v_fma_f16 v50, v49, s13, v50
	v_fma_f16 v49, v49, s13, v57
	v_add_f16_e32 v57, v36, v42
	v_add_f16_e32 v44, v44, v38
	v_fma_f16 v56, v57, -0.5, v56
	v_add_f16_e32 v44, v44, v40
	v_fma_f16 v57, v48, s12, v56
	v_sub_f16_e32 v36, v38, v36
	v_sub_f16_e32 v38, v40, v42
	v_fma_f16 v40, v48, s16, v56
	v_pack_b32_f16 v35, v53, v35
	v_add_f16_e32 v44, v44, v42
	v_fma_f16 v57, v47, s14, v57
	v_add_f16_e32 v36, v36, v38
	v_fma_f16 v40, v47, s15, v40
	ds_write_b32 v19, v35 offset:600
	v_pack_b32_f16 v35, v51, v45
	v_fma_f16 v38, v36, s13, v57
	v_fma_f16 v36, v36, s13, v40
	v_pack_b32_f16 v33, v33, v43
	v_pack_b32_f16 v40, v54, v52
	;; [unrolled: 1-line block ×3, first 2 shown]
	ds_write_b32 v19, v35 offset:800
	v_pack_b32_f16 v35, v39, v44
	ds_write_b32 v19, v40 offset:200
	ds_write_b32 v19, v37 offset:400
	ds_write2_b32 v19, v33, v35 offset1:25
	v_pack_b32_f16 v33, v46, v50
	ds_write_b32 v19, v33 offset:300
	v_pack_b32_f16 v33, v58, v38
	ds_write_b32 v19, v33 offset:500
	v_pack_b32_f16 v33, v34, v36
	ds_write_b32 v19, v33 offset:700
	v_pack_b32_f16 v33, v41, v49
	ds_write_b32 v19, v33 offset:900
	s_waitcnt lgkmcnt(0)
	s_barrier
	global_load_dword v35, v30, s[0:1] offset:1000
	global_load_dword v37, v30, s[6:7] offset:100
	;; [unrolled: 1-line block ×10, first 2 shown]
	ds_read2_b32 v[33:34], v19 offset1:25
	s_mov_b32 s0, 0xb4f2
	s_mov_b32 s1, 0xba79
	s_movk_i32 s6, 0x1ff
	s_movk_i32 s7, 0xffe
	s_waitcnt lgkmcnt(0)
	v_lshrrev_b32_e32 v30, 16, v33
	s_waitcnt vmcnt(9)
	v_mul_f16_sdwa v36, v30, v35 dst_sel:DWORD dst_unused:UNUSED_PAD src0_sel:DWORD src1_sel:WORD_1
	v_fma_f16 v36, v33, v35, -v36
	v_mul_f16_sdwa v33, v33, v35 dst_sel:DWORD dst_unused:UNUSED_PAD src0_sel:DWORD src1_sel:WORD_1
	v_fma_f16 v30, v30, v35, v33
	v_lshrrev_b32_e32 v33, 16, v34
	s_waitcnt vmcnt(8)
	v_mul_f16_sdwa v35, v33, v37 dst_sel:DWORD dst_unused:UNUSED_PAD src0_sel:DWORD src1_sel:WORD_1
	v_pack_b32_f16 v30, v36, v30
	v_fma_f16 v46, v34, v37, -v35
	ds_read2_b32 v[35:36], v19 offset0:50 offset1:75
	v_mul_f16_sdwa v34, v34, v37 dst_sel:DWORD dst_unused:UNUSED_PAD src0_sel:DWORD src1_sel:WORD_1
	v_fma_f16 v33, v33, v37, v34
	v_pack_b32_f16 v33, v46, v33
	ds_write2_b32 v19, v30, v33 offset1:25
	s_waitcnt lgkmcnt(1)
	v_lshrrev_b32_e32 v30, 16, v35
	s_waitcnt vmcnt(7)
	v_mul_f16_sdwa v33, v30, v38 dst_sel:DWORD dst_unused:UNUSED_PAD src0_sel:DWORD src1_sel:WORD_1
	v_mul_f16_sdwa v34, v35, v38 dst_sel:DWORD dst_unused:UNUSED_PAD src0_sel:DWORD src1_sel:WORD_1
	v_fma_f16 v33, v35, v38, -v33
	v_fma_f16 v30, v30, v38, v34
	v_lshrrev_b32_e32 v35, 16, v36
	v_pack_b32_f16 v30, v33, v30
	s_waitcnt vmcnt(6)
	v_mul_f16_sdwa v33, v35, v39 dst_sel:DWORD dst_unused:UNUSED_PAD src0_sel:DWORD src1_sel:WORD_1
	v_fma_f16 v37, v36, v39, -v33
	ds_read2_b32 v[33:34], v19 offset0:100 offset1:125
	v_mul_f16_sdwa v36, v36, v39 dst_sel:DWORD dst_unused:UNUSED_PAD src0_sel:DWORD src1_sel:WORD_1
	v_fma_f16 v35, v35, v39, v36
	v_pack_b32_f16 v35, v37, v35
	ds_write2_b32 v19, v30, v35 offset0:50 offset1:75
	s_waitcnt lgkmcnt(1)
	v_lshrrev_b32_e32 v30, 16, v33
	s_waitcnt vmcnt(5)
	v_mul_f16_sdwa v35, v30, v40 dst_sel:DWORD dst_unused:UNUSED_PAD src0_sel:DWORD src1_sel:WORD_1
	v_fma_f16 v35, v33, v40, -v35
	v_mul_f16_sdwa v33, v33, v40 dst_sel:DWORD dst_unused:UNUSED_PAD src0_sel:DWORD src1_sel:WORD_1
	v_fma_f16 v30, v30, v40, v33
	v_lshrrev_b32_e32 v33, 16, v34
	v_pack_b32_f16 v30, v35, v30
	s_waitcnt vmcnt(4)
	v_mul_f16_sdwa v35, v33, v41 dst_sel:DWORD dst_unused:UNUSED_PAD src0_sel:DWORD src1_sel:WORD_1
	v_fma_f16 v37, v34, v41, -v35
	ds_read2_b32 v[35:36], v19 offset0:150 offset1:175
	v_mul_f16_sdwa v34, v34, v41 dst_sel:DWORD dst_unused:UNUSED_PAD src0_sel:DWORD src1_sel:WORD_1
	v_fma_f16 v33, v33, v41, v34
	v_pack_b32_f16 v33, v37, v33
	ds_write2_b32 v19, v30, v33 offset0:100 offset1:125
	s_waitcnt lgkmcnt(1)
	v_lshrrev_b32_e32 v30, 16, v35
	s_waitcnt vmcnt(3)
	v_mul_f16_sdwa v33, v30, v42 dst_sel:DWORD dst_unused:UNUSED_PAD src0_sel:DWORD src1_sel:WORD_1
	v_mul_f16_sdwa v34, v35, v42 dst_sel:DWORD dst_unused:UNUSED_PAD src0_sel:DWORD src1_sel:WORD_1
	v_fma_f16 v33, v35, v42, -v33
	v_fma_f16 v30, v30, v42, v34
	v_lshrrev_b32_e32 v35, 16, v36
	v_pack_b32_f16 v30, v33, v30
	s_waitcnt vmcnt(2)
	v_mul_f16_sdwa v33, v35, v43 dst_sel:DWORD dst_unused:UNUSED_PAD src0_sel:DWORD src1_sel:WORD_1
	v_fma_f16 v37, v36, v43, -v33
	ds_read2_b32 v[33:34], v19 offset0:200 offset1:225
	v_mul_f16_sdwa v36, v36, v43 dst_sel:DWORD dst_unused:UNUSED_PAD src0_sel:DWORD src1_sel:WORD_1
	v_fma_f16 v35, v35, v43, v36
	v_pack_b32_f16 v35, v37, v35
	ds_write2_b32 v19, v30, v35 offset0:150 offset1:175
	s_waitcnt lgkmcnt(1)
	v_lshrrev_b32_e32 v30, 16, v33
	s_waitcnt vmcnt(1)
	v_mul_f16_sdwa v35, v30, v44 dst_sel:DWORD dst_unused:UNUSED_PAD src0_sel:DWORD src1_sel:WORD_1
	v_fma_f16 v35, v33, v44, -v35
	v_mul_f16_sdwa v33, v33, v44 dst_sel:DWORD dst_unused:UNUSED_PAD src0_sel:DWORD src1_sel:WORD_1
	v_fma_f16 v30, v30, v44, v33
	v_lshrrev_b32_e32 v33, 16, v34
	v_pack_b32_f16 v30, v35, v30
	s_waitcnt vmcnt(0)
	v_mul_f16_sdwa v35, v33, v45 dst_sel:DWORD dst_unused:UNUSED_PAD src0_sel:DWORD src1_sel:WORD_1
	v_fma_f16 v35, v34, v45, -v35
	v_mul_f16_sdwa v34, v34, v45 dst_sel:DWORD dst_unused:UNUSED_PAD src0_sel:DWORD src1_sel:WORD_1
	v_fma_f16 v33, v33, v45, v34
	v_pack_b32_f16 v33, v35, v33
	ds_write2_b32 v19, v30, v33 offset0:200 offset1:225
	s_waitcnt lgkmcnt(0)
	s_barrier
	ds_read2_b32 v[33:34], v19 offset1:25
	ds_read2_b32 v[35:36], v19 offset0:100 offset1:125
	ds_read2_b32 v[37:38], v19 offset0:150 offset1:175
	;; [unrolled: 1-line block ×4, first 2 shown]
	s_waitcnt lgkmcnt(0)
	s_barrier
	v_add_f16_e32 v30, v35, v37
	v_fma_f16 v30, v30, -0.5, v33
	v_sub_f16_sdwa v43, v39, v41 dst_sel:DWORD dst_unused:UNUSED_PAD src0_sel:WORD_1 src1_sel:WORD_1
	v_fma_f16 v44, v43, s16, v30
	v_sub_f16_sdwa v45, v35, v37 dst_sel:DWORD dst_unused:UNUSED_PAD src0_sel:WORD_1 src1_sel:WORD_1
	v_sub_f16_e32 v46, v41, v37
	v_sub_f16_e32 v47, v39, v35
	v_fma_f16 v30, v43, s12, v30
	v_fma_f16 v44, v45, s14, v44
	v_add_f16_e32 v46, v47, v46
	v_fma_f16 v30, v45, s15, v30
	v_fma_f16 v44, v46, s13, v44
	;; [unrolled: 1-line block ×3, first 2 shown]
	v_add_f16_e32 v46, v39, v41
	v_fma_f16 v46, v46, -0.5, v33
	v_fma_f16 v47, v45, s12, v46
	v_sub_f16_e32 v48, v37, v41
	v_sub_f16_e32 v49, v35, v39
	v_fma_f16 v45, v45, s16, v46
	v_fma_f16 v47, v43, s14, v47
	v_add_f16_e32 v48, v49, v48
	v_fma_f16 v43, v43, s15, v45
	v_pk_add_f16 v45, v33, v39
	v_add_f16_sdwa v46, v35, v37 dst_sel:DWORD dst_unused:UNUSED_PAD src0_sel:WORD_1 src1_sel:WORD_1
	v_lshrrev_b32_e32 v33, 16, v33
	v_fma_f16 v47, v48, s13, v47
	v_fma_f16 v43, v48, s13, v43
	v_fma_f16 v46, v46, -0.5, v33
	v_sub_f16_e32 v48, v39, v41
	v_fma_f16 v49, v48, s12, v46
	v_sub_f16_e32 v50, v35, v37
	v_sub_f16_sdwa v51, v39, v35 dst_sel:DWORD dst_unused:UNUSED_PAD src0_sel:WORD_1 src1_sel:WORD_1
	v_sub_f16_sdwa v52, v41, v37 dst_sel:DWORD dst_unused:UNUSED_PAD src0_sel:WORD_1 src1_sel:WORD_1
	v_fma_f16 v46, v48, s16, v46
	v_fma_f16 v49, v50, s15, v49
	v_add_f16_e32 v51, v51, v52
	v_fma_f16 v46, v50, s14, v46
	v_fma_f16 v49, v51, s13, v49
	;; [unrolled: 1-line block ×3, first 2 shown]
	v_add_f16_sdwa v51, v39, v41 dst_sel:DWORD dst_unused:UNUSED_PAD src0_sel:WORD_1 src1_sel:WORD_1
	v_fma_f16 v33, v51, -0.5, v33
	v_fma_f16 v51, v50, s16, v33
	v_sub_f16_sdwa v39, v35, v39 dst_sel:DWORD dst_unused:UNUSED_PAD src0_sel:WORD_1 src1_sel:WORD_1
	v_sub_f16_sdwa v52, v37, v41 dst_sel:DWORD dst_unused:UNUSED_PAD src0_sel:WORD_1 src1_sel:WORD_1
	v_fma_f16 v33, v50, s12, v33
	v_fma_f16 v51, v48, s15, v51
	v_add_f16_e32 v39, v39, v52
	v_fma_f16 v33, v48, s14, v33
	v_fma_f16 v51, v39, s13, v51
	;; [unrolled: 1-line block ×3, first 2 shown]
	v_add_f16_e32 v33, v36, v38
	v_fma_f16 v33, v33, -0.5, v34
	v_sub_f16_sdwa v48, v40, v42 dst_sel:DWORD dst_unused:UNUSED_PAD src0_sel:WORD_1 src1_sel:WORD_1
	v_fma_f16 v50, v48, s16, v33
	v_sub_f16_sdwa v52, v36, v38 dst_sel:DWORD dst_unused:UNUSED_PAD src0_sel:WORD_1 src1_sel:WORD_1
	v_sub_f16_e32 v53, v42, v38
	v_sub_f16_e32 v54, v40, v36
	v_fma_f16 v33, v48, s12, v33
	v_fma_f16 v50, v52, s14, v50
	v_add_f16_e32 v53, v54, v53
	v_fma_f16 v33, v52, s15, v33
	v_fma_f16 v50, v53, s13, v50
	;; [unrolled: 1-line block ×3, first 2 shown]
	v_add_f16_e32 v33, v40, v42
	v_fma_f16 v33, v33, -0.5, v34
	v_fma_f16 v54, v52, s12, v33
	v_sub_f16_e32 v55, v38, v42
	v_sub_f16_e32 v56, v36, v40
	v_fma_f16 v33, v52, s16, v33
	v_add_f16_e32 v55, v56, v55
	v_fma_f16 v33, v48, s15, v33
	v_fma_f16 v54, v48, s14, v54
	;; [unrolled: 1-line block ×3, first 2 shown]
	v_pk_add_f16 v33, v34, v40
	v_add_f16_sdwa v52, v36, v38 dst_sel:DWORD dst_unused:UNUSED_PAD src0_sel:WORD_1 src1_sel:WORD_1
	v_lshrrev_b32_e32 v34, 16, v34
	v_fma_f16 v54, v55, s13, v54
	v_fma_f16 v52, v52, -0.5, v34
	v_sub_f16_e32 v55, v40, v42
	v_sub_f16_sdwa v56, v40, v36 dst_sel:DWORD dst_unused:UNUSED_PAD src0_sel:WORD_1 src1_sel:WORD_1
	v_sub_f16_sdwa v57, v42, v38 dst_sel:DWORD dst_unused:UNUSED_PAD src0_sel:WORD_1 src1_sel:WORD_1
	v_add_f16_e32 v56, v56, v57
	v_fma_f16 v57, v55, s12, v52
	v_sub_f16_e32 v58, v36, v38
	v_fma_f16 v52, v55, s16, v52
	v_fma_f16 v57, v58, s15, v57
	;; [unrolled: 1-line block ×5, first 2 shown]
	v_add_f16_sdwa v56, v40, v42 dst_sel:DWORD dst_unused:UNUSED_PAD src0_sel:WORD_1 src1_sel:WORD_1
	v_pk_add_f16 v35, v45, v35
	v_pk_add_f16 v33, v33, v36
	v_fma_f16 v34, v56, -0.5, v34
	v_pk_add_f16 v35, v35, v37
	v_pk_add_f16 v33, v33, v38
	;; [unrolled: 1-line block ×4, first 2 shown]
	v_sub_f16_sdwa v33, v36, v40 dst_sel:DWORD dst_unused:UNUSED_PAD src0_sel:WORD_1 src1_sel:WORD_1
	v_fma_f16 v35, v58, s16, v34
	v_sub_f16_sdwa v36, v38, v42 dst_sel:DWORD dst_unused:UNUSED_PAD src0_sel:WORD_1 src1_sel:WORD_1
	v_fma_f16 v34, v58, s12, v34
	v_fma_f16 v35, v55, s15, v35
	v_add_f16_e32 v33, v33, v36
	v_fma_f16 v34, v55, s14, v34
	v_fma_f16 v35, v33, s13, v35
	;; [unrolled: 1-line block ×3, first 2 shown]
	v_mul_f16_e32 v33, 0xb8b4, v57
	v_fma_f16 v36, v50, s17, v33
	v_mul_f16_e32 v33, 0xbb9c, v35
	v_fma_f16 v40, v54, s13, v33
	;; [unrolled: 2-line block ×4, first 2 shown]
	v_mul_f16_e32 v33, 0x38b4, v50
	v_mul_f16_e32 v35, 0x34f2, v35
	;; [unrolled: 1-line block ×3, first 2 shown]
	v_fma_f16 v50, v57, s17, v33
	v_fma_f16 v35, v54, s12, v35
	;; [unrolled: 1-line block ×3, first 2 shown]
	v_mul_f16_e32 v52, 0xba79, v52
	v_add_f16_e32 v38, v44, v36
	v_add_f16_e32 v42, v47, v40
	;; [unrolled: 1-line block ×5, first 2 shown]
	v_fma_f16 v52, v53, s15, v52
	v_add_f16_e32 v53, v39, v34
	v_add_f16_e32 v58, v30, v56
	v_pk_add_f16 v33, v37, v41
	v_sub_f16_e32 v44, v44, v36
	v_add_f16_e32 v57, v46, v52
	v_sub_f16_e32 v40, v47, v40
	v_sub_f16_e32 v43, v43, v45
	;; [unrolled: 1-line block ×5, first 2 shown]
	v_pack_b32_f16 v36, v55, v53
	v_pack_b32_f16 v35, v42, v48
	;; [unrolled: 1-line block ×3, first 2 shown]
	v_sub_f16_e32 v30, v30, v56
	v_sub_f16_e32 v46, v46, v52
	ds_write2_b64 v29, v[33:34], v[35:36] offset1:1
	v_pk_add_f16 v34, v37, v41 neg_lo:[0,1] neg_hi:[0,1]
	v_pack_b32_f16 v36, v40, v47
	v_pack_b32_f16 v35, v44, v45
	;; [unrolled: 1-line block ×3, first 2 shown]
	ds_write2_b64 v29, v[33:34], v[35:36] offset0:2 offset1:3
	v_pack_b32_f16 v34, v30, v46
	v_pack_b32_f16 v33, v43, v39
	ds_write_b64 v29, v[33:34] offset:32
	s_waitcnt lgkmcnt(0)
	s_barrier
	ds_read2_b32 v[29:30], v19 offset1:25
	ds_read2_b32 v[33:34], v19 offset0:50 offset1:75
	ds_read2_b32 v[35:36], v19 offset0:100 offset1:125
	;; [unrolled: 1-line block ×4, first 2 shown]
	s_waitcnt lgkmcnt(4)
	v_lshrrev_b32_e32 v41, 16, v29
	s_waitcnt lgkmcnt(3)
	v_lshrrev_b32_e32 v42, 16, v33
	v_mul_f16_sdwa v51, v0, v42 dst_sel:DWORD dst_unused:UNUSED_PAD src0_sel:WORD_1 src1_sel:DWORD
	s_waitcnt lgkmcnt(2)
	v_lshrrev_b32_e32 v43, 16, v35
	v_fma_f16 v51, v0, v33, v51
	v_mul_f16_sdwa v33, v0, v33 dst_sel:DWORD dst_unused:UNUSED_PAD src0_sel:WORD_1 src1_sel:DWORD
	v_fma_f16 v0, v0, v42, -v33
	v_mul_f16_sdwa v33, v1, v43 dst_sel:DWORD dst_unused:UNUSED_PAD src0_sel:WORD_1 src1_sel:DWORD
	s_waitcnt lgkmcnt(1)
	v_lshrrev_b32_e32 v44, 16, v37
	v_fma_f16 v33, v1, v35, v33
	v_mul_f16_sdwa v35, v1, v35 dst_sel:DWORD dst_unused:UNUSED_PAD src0_sel:WORD_1 src1_sel:DWORD
	v_fma_f16 v1, v1, v43, -v35
	;; [unrolled: 6-line block ×3, first 2 shown]
	v_mul_f16_sdwa v37, v3, v45 dst_sel:DWORD dst_unused:UNUSED_PAD src0_sel:WORD_1 src1_sel:DWORD
	v_lshrrev_b32_e32 v47, 16, v34
	v_fma_f16 v37, v3, v39, v37
	v_mul_f16_sdwa v39, v3, v39 dst_sel:DWORD dst_unused:UNUSED_PAD src0_sel:WORD_1 src1_sel:DWORD
	v_fma_f16 v3, v3, v45, -v39
	v_mul_f16_sdwa v39, v4, v47 dst_sel:DWORD dst_unused:UNUSED_PAD src0_sel:WORD_1 src1_sel:DWORD
	v_lshrrev_b32_e32 v48, 16, v36
	v_fma_f16 v39, v4, v34, v39
	v_mul_f16_sdwa v34, v4, v34 dst_sel:DWORD dst_unused:UNUSED_PAD src0_sel:WORD_1 src1_sel:DWORD
	v_fma_f16 v4, v4, v47, -v34
	;; [unrolled: 5-line block ×3, first 2 shown]
	v_mul_f16_sdwa v36, v6, v49 dst_sel:DWORD dst_unused:UNUSED_PAD src0_sel:WORD_1 src1_sel:DWORD
	v_add_f16_e32 v42, v33, v35
	v_lshrrev_b32_e32 v50, 16, v40
	v_fma_f16 v36, v6, v38, v36
	v_mul_f16_sdwa v38, v6, v38 dst_sel:DWORD dst_unused:UNUSED_PAD src0_sel:WORD_1 src1_sel:DWORD
	v_fma_f16 v42, v42, -0.5, v29
	v_sub_f16_e32 v43, v0, v3
	v_fma_f16 v6, v6, v49, -v38
	v_mul_f16_sdwa v38, v7, v50 dst_sel:DWORD dst_unused:UNUSED_PAD src0_sel:WORD_1 src1_sel:DWORD
	v_fma_f16 v44, v43, s16, v42
	v_sub_f16_e32 v45, v1, v2
	v_sub_f16_e32 v47, v51, v33
	;; [unrolled: 1-line block ×3, first 2 shown]
	v_fma_f16 v42, v43, s12, v42
	v_fma_f16 v38, v7, v40, v38
	v_mul_f16_sdwa v40, v7, v40 dst_sel:DWORD dst_unused:UNUSED_PAD src0_sel:WORD_1 src1_sel:DWORD
	v_fma_f16 v44, v45, s14, v44
	v_add_f16_e32 v47, v47, v48
	v_fma_f16 v42, v45, s15, v42
	v_fma_f16 v7, v7, v50, -v40
	v_add_f16_e32 v40, v29, v51
	v_fma_f16 v44, v47, s13, v44
	v_fma_f16 v42, v47, s13, v42
	v_add_f16_e32 v47, v51, v37
	v_add_f16_e32 v40, v40, v33
	v_fma_f16 v29, v47, -0.5, v29
	v_add_f16_e32 v40, v40, v35
	v_fma_f16 v47, v45, s12, v29
	v_sub_f16_e32 v48, v33, v51
	v_sub_f16_e32 v49, v35, v37
	v_fma_f16 v29, v45, s16, v29
	v_add_f16_e32 v45, v1, v2
	v_add_f16_e32 v40, v40, v37
	v_fma_f16 v47, v43, s14, v47
	v_add_f16_e32 v48, v48, v49
	v_fma_f16 v29, v43, s15, v29
	v_fma_f16 v45, v45, -0.5, v41
	v_sub_f16_e32 v37, v51, v37
	v_fma_f16 v47, v48, s13, v47
	v_fma_f16 v29, v48, s13, v29
	;; [unrolled: 1-line block ×3, first 2 shown]
	v_sub_f16_e32 v33, v33, v35
	v_fma_f16 v35, v33, s15, v48
	v_sub_f16_e32 v48, v0, v1
	v_sub_f16_e32 v49, v3, v2
	v_fma_f16 v45, v37, s16, v45
	v_add_f16_e32 v43, v41, v0
	v_add_f16_e32 v48, v48, v49
	v_fma_f16 v45, v33, s14, v45
	v_add_f16_e32 v43, v43, v1
	v_fma_f16 v35, v48, s13, v35
	v_fma_f16 v45, v48, s13, v45
	v_add_f16_e32 v48, v0, v3
	v_add_f16_e32 v43, v43, v2
	v_fma_f16 v41, v48, -0.5, v41
	v_add_f16_e32 v43, v43, v3
	v_fma_f16 v48, v33, s16, v41
	v_sub_f16_e32 v0, v1, v0
	v_sub_f16_e32 v1, v2, v3
	v_add_f16_e32 v3, v34, v36
	v_fma_f16 v48, v37, s15, v48
	v_add_f16_e32 v0, v0, v1
	v_fma_f16 v2, v33, s12, v41
	v_fma_f16 v3, v3, -0.5, v30
	v_sub_f16_e32 v33, v4, v7
	v_fma_f16 v1, v0, s13, v48
	v_fma_f16 v2, v37, s14, v2
	;; [unrolled: 1-line block ×3, first 2 shown]
	v_sub_f16_e32 v41, v5, v6
	v_sub_f16_e32 v48, v39, v34
	;; [unrolled: 1-line block ×3, first 2 shown]
	v_fma_f16 v3, v33, s12, v3
	v_fma_f16 v37, v41, s14, v37
	v_add_f16_e32 v48, v48, v49
	v_fma_f16 v3, v41, s15, v3
	v_fma_f16 v0, v0, s13, v2
	v_add_f16_e32 v2, v30, v39
	;; [unrolled: 3-line block ×3, first 2 shown]
	v_lshrrev_b32_e32 v46, 16, v30
	v_add_f16_e32 v2, v2, v34
	v_fma_f16 v30, v48, -0.5, v30
	v_add_f16_e32 v2, v2, v36
	v_fma_f16 v48, v41, s12, v30
	v_fma_f16 v30, v41, s16, v30
	v_add_f16_e32 v41, v5, v6
	v_add_f16_e32 v2, v2, v38
	v_sub_f16_e32 v49, v34, v39
	v_sub_f16_e32 v50, v36, v38
	v_fma_f16 v41, v41, -0.5, v46
	v_sub_f16_e32 v38, v39, v38
	v_fma_f16 v48, v33, s14, v48
	v_add_f16_e32 v49, v49, v50
	v_fma_f16 v30, v33, s15, v30
	v_fma_f16 v39, v38, s12, v41
	v_sub_f16_e32 v34, v34, v36
	v_fma_f16 v48, v49, s13, v48
	v_fma_f16 v30, v49, s13, v30
	;; [unrolled: 1-line block ×3, first 2 shown]
	v_sub_f16_e32 v39, v4, v5
	v_sub_f16_e32 v49, v7, v6
	v_fma_f16 v41, v38, s16, v41
	v_add_f16_e32 v39, v39, v49
	v_fma_f16 v41, v34, s14, v41
	v_add_f16_e32 v33, v46, v4
	v_fma_f16 v36, v39, s13, v36
	v_fma_f16 v39, v39, s13, v41
	v_add_f16_e32 v41, v4, v7
	v_add_f16_e32 v33, v33, v5
	v_fma_f16 v41, v41, -0.5, v46
	v_add_f16_e32 v33, v33, v6
	v_fma_f16 v46, v34, s16, v41
	v_sub_f16_e32 v4, v5, v4
	v_sub_f16_e32 v5, v6, v7
	v_fma_f16 v6, v34, s12, v41
	v_pack_b32_f16 v1, v47, v1
	v_pack_b32_f16 v0, v29, v0
	v_add_f16_e32 v33, v33, v7
	v_fma_f16 v46, v38, s15, v46
	v_add_f16_e32 v4, v4, v5
	v_fma_f16 v6, v38, s14, v6
	s_barrier
	ds_write2_b32 v31, v1, v0 offset0:20 offset1:30
	v_pack_b32_f16 v0, v42, v45
	v_fma_f16 v5, v4, s13, v46
	v_fma_f16 v4, v4, s13, v6
	v_pack_b32_f16 v6, v40, v43
	v_pack_b32_f16 v7, v44, v35
	ds_write_b32 v31, v0 offset:160
	v_pack_b32_f16 v0, v2, v33
	v_pack_b32_f16 v1, v37, v36
	ds_write2_b32 v31, v6, v7 offset1:10
	ds_write2_b32 v32, v0, v1 offset1:10
	v_pack_b32_f16 v0, v48, v5
	v_pack_b32_f16 v1, v30, v4
	ds_write2_b32 v32, v0, v1 offset0:20 offset1:30
	v_pack_b32_f16 v0, v3, v39
	ds_write_b32 v32, v0 offset:160
	s_waitcnt lgkmcnt(0)
	s_barrier
	ds_read2_b32 v[0:1], v19 offset1:25
	ds_read2_b32 v[2:3], v19 offset0:50 offset1:75
	ds_read2_b32 v[4:5], v19 offset0:100 offset1:125
	;; [unrolled: 1-line block ×4, first 2 shown]
	s_waitcnt lgkmcnt(4)
	v_lshrrev_b32_e32 v31, 16, v0
	s_waitcnt lgkmcnt(3)
	v_lshrrev_b32_e32 v32, 16, v2
	v_mul_f16_sdwa v41, v8, v32 dst_sel:DWORD dst_unused:UNUSED_PAD src0_sel:WORD_1 src1_sel:DWORD
	s_waitcnt lgkmcnt(2)
	v_lshrrev_b32_e32 v33, 16, v4
	v_fma_f16 v41, v8, v2, v41
	v_mul_f16_sdwa v2, v8, v2 dst_sel:DWORD dst_unused:UNUSED_PAD src0_sel:WORD_1 src1_sel:DWORD
	v_fma_f16 v2, v8, v32, -v2
	v_mul_f16_sdwa v8, v9, v33 dst_sel:DWORD dst_unused:UNUSED_PAD src0_sel:WORD_1 src1_sel:DWORD
	s_waitcnt lgkmcnt(1)
	v_lshrrev_b32_e32 v34, 16, v6
	v_fma_f16 v8, v9, v4, v8
	v_mul_f16_sdwa v4, v9, v4 dst_sel:DWORD dst_unused:UNUSED_PAD src0_sel:WORD_1 src1_sel:DWORD
	v_fma_f16 v4, v9, v33, -v4
	;; [unrolled: 6-line block ×3, first 2 shown]
	v_mul_f16_sdwa v10, v11, v35 dst_sel:DWORD dst_unused:UNUSED_PAD src0_sel:WORD_1 src1_sel:DWORD
	v_lshrrev_b32_e32 v37, 16, v3
	v_fma_f16 v10, v11, v29, v10
	v_mul_f16_sdwa v29, v11, v29 dst_sel:DWORD dst_unused:UNUSED_PAD src0_sel:WORD_1 src1_sel:DWORD
	v_fma_f16 v11, v11, v35, -v29
	v_mul_f16_sdwa v29, v12, v37 dst_sel:DWORD dst_unused:UNUSED_PAD src0_sel:WORD_1 src1_sel:DWORD
	v_lshrrev_b32_e32 v38, 16, v5
	v_fma_f16 v29, v12, v3, v29
	v_mul_f16_sdwa v3, v12, v3 dst_sel:DWORD dst_unused:UNUSED_PAD src0_sel:WORD_1 src1_sel:DWORD
	v_fma_f16 v3, v12, v37, -v3
	;; [unrolled: 5-line block ×3, first 2 shown]
	v_mul_f16_sdwa v13, v14, v39 dst_sel:DWORD dst_unused:UNUSED_PAD src0_sel:WORD_1 src1_sel:DWORD
	v_add_f16_e32 v32, v8, v9
	v_lshrrev_b32_e32 v40, 16, v30
	v_fma_f16 v13, v14, v7, v13
	v_mul_f16_sdwa v7, v14, v7 dst_sel:DWORD dst_unused:UNUSED_PAD src0_sel:WORD_1 src1_sel:DWORD
	v_fma_f16 v32, v32, -0.5, v0
	v_sub_f16_e32 v33, v2, v11
	v_fma_f16 v7, v14, v39, -v7
	v_mul_f16_sdwa v14, v15, v40 dst_sel:DWORD dst_unused:UNUSED_PAD src0_sel:WORD_1 src1_sel:DWORD
	v_fma_f16 v34, v33, s16, v32
	v_sub_f16_e32 v35, v4, v6
	v_sub_f16_e32 v37, v41, v8
	;; [unrolled: 1-line block ×3, first 2 shown]
	v_fma_f16 v32, v33, s12, v32
	v_fma_f16 v14, v15, v30, v14
	v_mul_f16_sdwa v30, v15, v30 dst_sel:DWORD dst_unused:UNUSED_PAD src0_sel:WORD_1 src1_sel:DWORD
	v_fma_f16 v34, v35, s14, v34
	v_add_f16_e32 v37, v37, v38
	v_fma_f16 v32, v35, s15, v32
	v_fma_f16 v15, v15, v40, -v30
	v_add_f16_e32 v30, v0, v41
	v_fma_f16 v34, v37, s13, v34
	v_fma_f16 v32, v37, s13, v32
	v_add_f16_e32 v37, v41, v10
	v_add_f16_e32 v30, v30, v8
	v_fma_f16 v0, v37, -0.5, v0
	v_add_f16_e32 v30, v30, v9
	v_fma_f16 v37, v35, s12, v0
	v_sub_f16_e32 v38, v8, v41
	v_sub_f16_e32 v39, v9, v10
	v_fma_f16 v0, v35, s16, v0
	v_add_f16_e32 v35, v4, v6
	v_add_f16_e32 v30, v30, v10
	v_fma_f16 v37, v33, s14, v37
	v_add_f16_e32 v38, v38, v39
	v_fma_f16 v0, v33, s15, v0
	v_fma_f16 v35, v35, -0.5, v31
	v_sub_f16_e32 v10, v41, v10
	v_fma_f16 v37, v38, s13, v37
	v_fma_f16 v0, v38, s13, v0
	;; [unrolled: 1-line block ×3, first 2 shown]
	v_sub_f16_e32 v8, v8, v9
	v_fma_f16 v9, v8, s15, v38
	v_sub_f16_e32 v38, v2, v4
	v_sub_f16_e32 v39, v11, v6
	v_fma_f16 v35, v10, s16, v35
	v_add_f16_e32 v38, v38, v39
	v_fma_f16 v35, v8, s14, v35
	v_add_f16_e32 v33, v31, v2
	v_fma_f16 v9, v38, s13, v9
	v_fma_f16 v35, v38, s13, v35
	v_add_f16_e32 v38, v2, v11
	v_add_f16_e32 v33, v33, v4
	v_fma_f16 v31, v38, -0.5, v31
	v_add_f16_e32 v33, v33, v6
	v_fma_f16 v38, v8, s16, v31
	v_sub_f16_e32 v2, v4, v2
	v_sub_f16_e32 v4, v6, v11
	v_fma_f16 v6, v8, s12, v31
	v_add_f16_e32 v8, v12, v13
	v_fma_f16 v38, v10, s15, v38
	v_add_f16_e32 v2, v2, v4
	v_fma_f16 v6, v10, s14, v6
	v_fma_f16 v8, v8, -0.5, v1
	v_sub_f16_e32 v10, v3, v15
	v_add_f16_e32 v33, v33, v11
	v_fma_f16 v4, v2, s13, v38
	v_fma_f16 v11, v10, s16, v8
	v_sub_f16_e32 v31, v5, v7
	v_sub_f16_e32 v38, v29, v12
	;; [unrolled: 1-line block ×3, first 2 shown]
	v_fma_f16 v8, v10, s12, v8
	v_fma_f16 v11, v31, s14, v11
	v_add_f16_e32 v38, v38, v39
	v_fma_f16 v8, v31, s15, v8
	v_fma_f16 v2, v2, s13, v6
	v_add_f16_e32 v6, v1, v29
	;; [unrolled: 3-line block ×3, first 2 shown]
	v_lshrrev_b32_e32 v36, 16, v1
	v_add_f16_e32 v6, v6, v12
	v_fma_f16 v1, v38, -0.5, v1
	v_add_f16_e32 v6, v6, v13
	v_fma_f16 v38, v31, s12, v1
	v_fma_f16 v1, v31, s16, v1
	v_add_f16_e32 v31, v5, v7
	v_add_f16_e32 v6, v6, v14
	v_sub_f16_e32 v39, v12, v29
	v_sub_f16_e32 v40, v13, v14
	v_fma_f16 v31, v31, -0.5, v36
	v_sub_f16_e32 v14, v29, v14
	v_fma_f16 v38, v10, s14, v38
	v_add_f16_e32 v39, v39, v40
	v_fma_f16 v1, v10, s15, v1
	v_fma_f16 v29, v14, s12, v31
	v_sub_f16_e32 v12, v12, v13
	v_fma_f16 v38, v39, s13, v38
	v_fma_f16 v1, v39, s13, v1
	;; [unrolled: 1-line block ×3, first 2 shown]
	v_sub_f16_e32 v29, v3, v5
	v_sub_f16_e32 v39, v15, v7
	v_fma_f16 v31, v14, s16, v31
	v_add_f16_e32 v29, v29, v39
	v_fma_f16 v31, v12, s14, v31
	v_add_f16_e32 v10, v36, v3
	v_fma_f16 v13, v29, s13, v13
	v_fma_f16 v29, v29, s13, v31
	v_add_f16_e32 v31, v3, v15
	v_add_f16_e32 v10, v10, v5
	v_fma_f16 v31, v31, -0.5, v36
	v_add_f16_e32 v10, v10, v7
	v_fma_f16 v36, v12, s16, v31
	v_sub_f16_e32 v3, v5, v3
	v_sub_f16_e32 v5, v7, v15
	v_fma_f16 v7, v12, s12, v31
	v_fma_f16 v36, v14, s15, v36
	v_add_f16_e32 v3, v3, v5
	v_fma_f16 v7, v14, s14, v7
	v_add_f16_e32 v10, v10, v15
	v_fma_f16 v5, v3, s13, v36
	v_fma_f16 v3, v3, s13, v7
	v_pack_b32_f16 v7, v30, v33
	v_pack_b32_f16 v0, v0, v2
	;; [unrolled: 1-line block ×7, first 2 shown]
	ds_write2_b32 v19, v7, v6 offset1:25
	v_pack_b32_f16 v6, v11, v13
	v_pack_b32_f16 v5, v38, v5
	ds_write2_b32 v19, v0, v1 offset0:150 offset1:175
	v_pack_b32_f16 v0, v8, v29
	ds_write2_b32 v19, v9, v6 offset0:50 offset1:75
	ds_write2_b32 v19, v4, v5 offset0:100 offset1:125
	;; [unrolled: 1-line block ×3, first 2 shown]
	s_waitcnt lgkmcnt(0)
	s_barrier
	ds_read2_b32 v[0:1], v19 offset1:25
	s_waitcnt lgkmcnt(0)
	v_lshrrev_b32_e32 v8, 16, v0
	v_mul_f16_sdwa v2, v28, v8 dst_sel:DWORD dst_unused:UNUSED_PAD src0_sel:WORD_1 src1_sel:DWORD
	v_fma_f16 v2, v28, v0, v2
	v_cvt_f32_f16_e32 v4, v2
	v_mad_u64_u32 v[2:3], s[0:1], s10, v16, 0
	v_mul_f16_sdwa v0, v28, v0 dst_sel:DWORD dst_unused:UNUSED_PAD src0_sel:WORD_1 src1_sel:DWORD
	v_cvt_f64_f32_e32 v[4:5], v4
	v_fma_f16 v0, v28, v8, -v0
	s_movk_i32 s10, 0x40f
	v_mul_f64 v[4:5], v[4:5], s[2:3]
	v_mad_u64_u32 v[6:7], s[0:1], s11, v16, v[3:4]
	v_and_or_b32 v4, v5, s6, v4
	v_cmp_ne_u32_e32 vcc, 0, v4
	v_mov_b32_e32 v3, v6
	v_cndmask_b32_e64 v4, 0, 1, vcc
	v_lshrrev_b32_e32 v6, 8, v5
	v_bfe_u32 v7, v5, 20, 11
	v_and_or_b32 v4, v6, s7, v4
	v_sub_u32_e32 v9, 0x3f1, v7
	v_or_b32_e32 v6, 0x1000, v4
	v_med3_i32 v9, v9, 0, 13
	v_lshrrev_b32_e32 v10, v9, v6
	v_lshlrev_b32_e32 v9, v9, v10
	v_cmp_ne_u32_e32 vcc, v9, v6
	v_cndmask_b32_e64 v6, 0, 1, vcc
	v_add_u32_e32 v9, 0xfffffc10, v7
	v_or_b32_e32 v6, v10, v6
	v_lshl_or_b32 v7, v9, 12, v4
	v_cmp_gt_i32_e32 vcc, 1, v9
	v_cndmask_b32_e32 v6, v7, v6, vcc
	v_and_b32_e32 v7, 7, v6
	v_cmp_lt_i32_e32 vcc, 5, v7
	v_cmp_eq_u32_e64 s[0:1], 3, v7
	v_cvt_f32_f16_e32 v7, v0
	v_lshrrev_b32_e32 v6, 2, v6
	s_or_b64 vcc, s[0:1], vcc
	v_addc_co_u32_e32 v8, vcc, 0, v6, vcc
	v_cvt_f64_f32_e32 v[6:7], v7
	v_mov_b32_e32 v0, 0x7c00
	v_cmp_gt_i32_e32 vcc, 31, v9
	v_cndmask_b32_e32 v8, v0, v8, vcc
	v_mul_f64 v[6:7], v[6:7], s[2:3]
	v_cmp_ne_u32_e32 vcc, 0, v4
	v_cndmask_b32_e64 v4, 0, 1, vcc
	v_lshl_or_b32 v4, v4, 9, v0
	v_cmp_eq_u32_e32 vcc, s10, v9
	v_cndmask_b32_e32 v4, v8, v4, vcc
	v_lshrrev_b32_e32 v5, 16, v5
	s_mov_b32 s11, 0x8000
	v_and_or_b32 v8, v5, s11, v4
	v_and_or_b32 v4, v7, s6, v6
	v_cmp_ne_u32_e32 vcc, 0, v4
	v_cndmask_b32_e64 v4, 0, 1, vcc
	v_lshrrev_b32_e32 v5, 8, v7
	v_bfe_u32 v6, v7, 20, 11
	v_and_or_b32 v4, v5, s7, v4
	v_sub_u32_e32 v9, 0x3f1, v6
	v_or_b32_e32 v5, 0x1000, v4
	v_med3_i32 v9, v9, 0, 13
	v_lshrrev_b32_e32 v10, v9, v5
	v_lshlrev_b32_e32 v9, v9, v10
	v_cmp_ne_u32_e32 vcc, v9, v5
	v_cndmask_b32_e64 v5, 0, 1, vcc
	v_add_u32_e32 v6, 0xfffffc10, v6
	v_or_b32_e32 v5, v10, v5
	v_lshl_or_b32 v9, v6, 12, v4
	v_cmp_gt_i32_e32 vcc, 1, v6
	v_cndmask_b32_e32 v5, v9, v5, vcc
	v_and_b32_e32 v9, 7, v5
	v_cmp_lt_i32_e32 vcc, 5, v9
	v_cmp_eq_u32_e64 s[0:1], 3, v9
	v_lshrrev_b32_e32 v5, 2, v5
	s_or_b64 vcc, s[0:1], vcc
	v_addc_co_u32_e32 v5, vcc, 0, v5, vcc
	v_cmp_gt_i32_e32 vcc, 31, v6
	v_cndmask_b32_e32 v9, v0, v5, vcc
	v_cmp_ne_u32_e32 vcc, 0, v4
	v_cndmask_b32_e64 v4, 0, 1, vcc
	v_lshl_or_b32 v10, v4, 9, v0
	v_mad_u64_u32 v[4:5], s[0:1], s8, v27, 0
	v_cmp_eq_u32_e32 vcc, s10, v6
	v_cndmask_b32_e32 v9, v9, v10, vcc
	v_mad_u64_u32 v[5:6], s[0:1], s9, v27, v[5:6]
	v_lshrrev_b32_e32 v10, 16, v1
	v_mul_f16_sdwa v6, v26, v10 dst_sel:DWORD dst_unused:UNUSED_PAD src0_sel:WORD_1 src1_sel:DWORD
	v_fma_f16 v6, v26, v1, v6
	v_cvt_f32_f16_e32 v6, v6
	v_lshrrev_b32_e32 v7, 16, v7
	v_and_or_b32 v9, v7, s11, v9
	v_lshlrev_b64 v[2:3], 2, v[2:3]
	v_cvt_f64_f32_e32 v[6:7], v6
	v_and_b32_e32 v8, 0xffff, v8
	v_lshl_or_b32 v8, v9, 16, v8
	v_mov_b32_e32 v9, s5
	v_mul_f64 v[6:7], v[6:7], s[2:3]
	v_add_co_u32_e32 v11, vcc, s4, v2
	v_addc_co_u32_e32 v9, vcc, v9, v3, vcc
	v_lshlrev_b64 v[2:3], 2, v[4:5]
	v_mul_f16_sdwa v1, v26, v1 dst_sel:DWORD dst_unused:UNUSED_PAD src0_sel:WORD_1 src1_sel:DWORD
	v_add_co_u32_e32 v2, vcc, v11, v2
	v_addc_co_u32_e32 v3, vcc, v9, v3, vcc
	v_and_or_b32 v4, v7, s6, v6
	v_cmp_ne_u32_e32 vcc, 0, v4
	v_cndmask_b32_e64 v4, 0, 1, vcc
	v_lshrrev_b32_e32 v5, 8, v7
	v_and_or_b32 v6, v5, s7, v4
	v_bfe_u32 v5, v7, 20, 11
	global_store_dword v[2:3], v8, off
	v_sub_u32_e32 v8, 0x3f1, v5
	v_or_b32_e32 v4, 0x1000, v6
	v_med3_i32 v8, v8, 0, 13
	v_lshrrev_b32_e32 v9, v8, v4
	v_lshlrev_b32_e32 v8, v8, v9
	v_cmp_ne_u32_e32 vcc, v8, v4
	v_fma_f16 v1, v26, v10, -v1
	v_cndmask_b32_e64 v4, 0, 1, vcc
	v_add_u32_e32 v8, 0xfffffc10, v5
	v_cvt_f32_f16_e32 v1, v1
	v_or_b32_e32 v4, v9, v4
	v_lshl_or_b32 v5, v8, 12, v6
	v_cmp_gt_i32_e32 vcc, 1, v8
	v_cndmask_b32_e32 v4, v5, v4, vcc
	v_and_b32_e32 v5, 7, v4
	v_cmp_lt_i32_e32 vcc, 5, v5
	v_cmp_eq_u32_e64 s[0:1], 3, v5
	v_lshrrev_b32_e32 v9, 2, v4
	v_cvt_f64_f32_e32 v[4:5], v1
	s_or_b64 vcc, s[0:1], vcc
	v_addc_co_u32_e32 v1, vcc, 0, v9, vcc
	v_mul_f64 v[4:5], v[4:5], s[2:3]
	v_cmp_gt_i32_e32 vcc, 31, v8
	v_cndmask_b32_e32 v1, v0, v1, vcc
	v_cmp_ne_u32_e32 vcc, 0, v6
	v_cndmask_b32_e64 v6, 0, 1, vcc
	v_lshl_or_b32 v6, v6, 9, v0
	v_cmp_eq_u32_e32 vcc, s10, v8
	v_cndmask_b32_e32 v1, v1, v6, vcc
	v_and_or_b32 v4, v5, s6, v4
	v_lshrrev_b32_e32 v6, 16, v7
	v_cmp_ne_u32_e32 vcc, 0, v4
	v_and_or_b32 v1, v6, s11, v1
	v_cndmask_b32_e64 v4, 0, 1, vcc
	v_lshrrev_b32_e32 v6, 8, v5
	v_bfe_u32 v7, v5, 20, 11
	v_and_or_b32 v4, v6, s7, v4
	v_sub_u32_e32 v8, 0x3f1, v7
	v_or_b32_e32 v6, 0x1000, v4
	v_med3_i32 v8, v8, 0, 13
	v_lshrrev_b32_e32 v9, v8, v6
	v_lshlrev_b32_e32 v8, v8, v9
	v_cmp_ne_u32_e32 vcc, v8, v6
	v_cndmask_b32_e64 v6, 0, 1, vcc
	v_add_u32_e32 v8, 0xfffffc10, v7
	v_or_b32_e32 v6, v9, v6
	v_lshl_or_b32 v7, v8, 12, v4
	v_cmp_gt_i32_e32 vcc, 1, v8
	v_cndmask_b32_e32 v6, v7, v6, vcc
	v_and_b32_e32 v7, 7, v6
	v_cmp_lt_i32_e32 vcc, 5, v7
	v_cmp_eq_u32_e64 s[0:1], 3, v7
	v_lshrrev_b32_e32 v6, 2, v6
	s_or_b64 vcc, s[0:1], vcc
	v_addc_co_u32_e32 v6, vcc, 0, v6, vcc
	v_cmp_gt_i32_e32 vcc, 31, v8
	v_cndmask_b32_e32 v9, v0, v6, vcc
	ds_read2_b32 v[6:7], v19 offset0:50 offset1:75
	v_cmp_ne_u32_e32 vcc, 0, v4
	v_cndmask_b32_e64 v4, 0, 1, vcc
	v_lshl_or_b32 v4, v4, 9, v0
	v_cmp_eq_u32_e32 vcc, s10, v8
	s_waitcnt lgkmcnt(0)
	v_lshrrev_b32_e32 v8, 16, v6
	v_cndmask_b32_e32 v4, v9, v4, vcc
	v_mul_f16_sdwa v9, v25, v8 dst_sel:DWORD dst_unused:UNUSED_PAD src0_sel:WORD_1 src1_sel:DWORD
	v_fma_f16 v9, v25, v6, v9
	v_cvt_f32_f16_e32 v9, v9
	v_lshrrev_b32_e32 v5, 16, v5
	v_and_or_b32 v4, v5, s11, v4
	v_and_b32_e32 v1, 0xffff, v1
	v_lshl_or_b32 v10, v4, 16, v1
	v_cvt_f64_f32_e32 v[4:5], v9
	s_mul_i32 s0, s9, 0x64
	s_mul_hi_u32 s4, s8, 0x64
	s_add_i32 s4, s4, s0
	v_mul_f64 v[4:5], v[4:5], s[2:3]
	s_mul_i32 s5, s8, 0x64
	v_mov_b32_e32 v9, s4
	v_add_co_u32_e32 v1, vcc, s5, v2
	v_addc_co_u32_e32 v2, vcc, v3, v9, vcc
	global_store_dword v[1:2], v10, off
	v_and_or_b32 v3, v5, s6, v4
	v_cmp_ne_u32_e32 vcc, 0, v3
	v_cndmask_b32_e64 v3, 0, 1, vcc
	v_lshrrev_b32_e32 v4, 8, v5
	v_and_or_b32 v9, v4, s7, v3
	v_bfe_u32 v4, v5, 20, 11
	v_sub_u32_e32 v10, 0x3f1, v4
	v_or_b32_e32 v3, 0x1000, v9
	v_med3_i32 v10, v10, 0, 13
	v_lshrrev_b32_e32 v11, v10, v3
	v_lshlrev_b32_e32 v10, v10, v11
	v_mul_f16_sdwa v6, v25, v6 dst_sel:DWORD dst_unused:UNUSED_PAD src0_sel:WORD_1 src1_sel:DWORD
	v_cmp_ne_u32_e32 vcc, v10, v3
	v_fma_f16 v6, v25, v8, -v6
	v_cndmask_b32_e64 v3, 0, 1, vcc
	v_add_u32_e32 v10, 0xfffffc10, v4
	v_cvt_f32_f16_e32 v6, v6
	v_or_b32_e32 v3, v11, v3
	v_lshl_or_b32 v4, v10, 12, v9
	v_cmp_gt_i32_e32 vcc, 1, v10
	v_cndmask_b32_e32 v3, v4, v3, vcc
	v_and_b32_e32 v4, 7, v3
	v_cmp_lt_i32_e32 vcc, 5, v4
	v_cmp_eq_u32_e64 s[0:1], 3, v4
	v_lshrrev_b32_e32 v8, 2, v3
	v_cvt_f64_f32_e32 v[3:4], v6
	s_or_b64 vcc, s[0:1], vcc
	v_addc_co_u32_e32 v6, vcc, 0, v8, vcc
	v_mul_f64 v[3:4], v[3:4], s[2:3]
	v_cmp_gt_i32_e32 vcc, 31, v10
	v_cndmask_b32_e32 v6, v0, v6, vcc
	v_cmp_ne_u32_e32 vcc, 0, v9
	v_cndmask_b32_e64 v8, 0, 1, vcc
	v_lshl_or_b32 v8, v8, 9, v0
	v_cmp_eq_u32_e32 vcc, s10, v10
	v_cndmask_b32_e32 v6, v6, v8, vcc
	v_and_or_b32 v3, v4, s6, v3
	v_lshrrev_b32_e32 v5, 16, v5
	v_cmp_ne_u32_e32 vcc, 0, v3
	v_and_or_b32 v8, v5, s11, v6
	v_cndmask_b32_e64 v3, 0, 1, vcc
	v_lshrrev_b32_e32 v5, 8, v4
	v_bfe_u32 v6, v4, 20, 11
	v_and_or_b32 v3, v5, s7, v3
	v_sub_u32_e32 v9, 0x3f1, v6
	v_or_b32_e32 v5, 0x1000, v3
	v_med3_i32 v9, v9, 0, 13
	v_lshrrev_b32_e32 v10, v9, v5
	v_lshlrev_b32_e32 v9, v9, v10
	v_cmp_ne_u32_e32 vcc, v9, v5
	v_cndmask_b32_e64 v5, 0, 1, vcc
	v_add_u32_e32 v6, 0xfffffc10, v6
	v_or_b32_e32 v5, v10, v5
	v_lshl_or_b32 v9, v6, 12, v3
	v_cmp_gt_i32_e32 vcc, 1, v6
	v_cndmask_b32_e32 v5, v9, v5, vcc
	v_and_b32_e32 v9, 7, v5
	v_cmp_lt_i32_e32 vcc, 5, v9
	v_cmp_eq_u32_e64 s[0:1], 3, v9
	v_lshrrev_b32_e32 v9, 16, v7
	v_lshrrev_b32_e32 v5, 2, v5
	s_or_b64 vcc, s[0:1], vcc
	v_mul_f16_sdwa v10, v24, v9 dst_sel:DWORD dst_unused:UNUSED_PAD src0_sel:WORD_1 src1_sel:DWORD
	v_addc_co_u32_e32 v5, vcc, 0, v5, vcc
	v_fma_f16 v10, v24, v7, v10
	v_cmp_gt_i32_e32 vcc, 31, v6
	v_cvt_f32_f16_e32 v10, v10
	v_cndmask_b32_e32 v5, v0, v5, vcc
	v_cmp_ne_u32_e32 vcc, 0, v3
	v_cndmask_b32_e64 v3, 0, 1, vcc
	v_lshl_or_b32 v3, v3, 9, v0
	v_cmp_eq_u32_e32 vcc, s10, v6
	v_cndmask_b32_e32 v3, v5, v3, vcc
	v_cvt_f64_f32_e32 v[5:6], v10
	v_lshrrev_b32_e32 v4, 16, v4
	v_and_or_b32 v10, v4, s11, v3
	v_add_co_u32_e32 v1, vcc, s5, v1
	v_mul_f64 v[3:4], v[5:6], s[2:3]
	v_mov_b32_e32 v6, s4
	v_and_b32_e32 v8, 0xffff, v8
	v_addc_co_u32_e32 v2, vcc, v2, v6, vcc
	v_lshl_or_b32 v5, v10, 16, v8
	global_store_dword v[1:2], v5, off
	v_mul_f16_sdwa v7, v24, v7 dst_sel:DWORD dst_unused:UNUSED_PAD src0_sel:WORD_1 src1_sel:DWORD
	v_and_or_b32 v3, v4, s6, v3
	v_cmp_ne_u32_e32 vcc, 0, v3
	v_cndmask_b32_e64 v3, 0, 1, vcc
	v_lshrrev_b32_e32 v5, 8, v4
	v_bfe_u32 v6, v4, 20, 11
	v_and_or_b32 v3, v5, s7, v3
	v_sub_u32_e32 v8, 0x3f1, v6
	v_or_b32_e32 v5, 0x1000, v3
	v_med3_i32 v8, v8, 0, 13
	v_lshrrev_b32_e32 v10, v8, v5
	v_lshlrev_b32_e32 v8, v8, v10
	v_cmp_ne_u32_e32 vcc, v8, v5
	v_fma_f16 v7, v24, v9, -v7
	v_cndmask_b32_e64 v5, 0, 1, vcc
	v_add_u32_e32 v8, 0xfffffc10, v6
	v_cvt_f32_f16_e32 v7, v7
	v_or_b32_e32 v5, v10, v5
	v_lshl_or_b32 v6, v8, 12, v3
	v_cmp_gt_i32_e32 vcc, 1, v8
	v_cndmask_b32_e32 v5, v6, v5, vcc
	v_and_b32_e32 v6, 7, v5
	v_cmp_lt_i32_e32 vcc, 5, v6
	v_cmp_eq_u32_e64 s[0:1], 3, v6
	v_lshrrev_b32_e32 v9, 2, v5
	v_cvt_f64_f32_e32 v[5:6], v7
	s_or_b64 vcc, s[0:1], vcc
	v_addc_co_u32_e32 v7, vcc, 0, v9, vcc
	v_mul_f64 v[5:6], v[5:6], s[2:3]
	v_cmp_gt_i32_e32 vcc, 31, v8
	v_cndmask_b32_e32 v7, v0, v7, vcc
	v_cmp_ne_u32_e32 vcc, 0, v3
	v_cndmask_b32_e64 v3, 0, 1, vcc
	v_lshl_or_b32 v3, v3, 9, v0
	v_cmp_eq_u32_e32 vcc, s10, v8
	v_cndmask_b32_e32 v3, v7, v3, vcc
	v_lshrrev_b32_e32 v4, 16, v4
	v_and_or_b32 v9, v4, s11, v3
	v_and_or_b32 v3, v6, s6, v5
	v_cmp_ne_u32_e32 vcc, 0, v3
	v_cndmask_b32_e64 v3, 0, 1, vcc
	v_lshrrev_b32_e32 v4, 8, v6
	v_and_or_b32 v5, v4, s7, v3
	v_bfe_u32 v4, v6, 20, 11
	v_sub_u32_e32 v7, 0x3f1, v4
	v_or_b32_e32 v3, 0x1000, v5
	v_med3_i32 v7, v7, 0, 13
	v_lshrrev_b32_e32 v8, v7, v3
	v_lshlrev_b32_e32 v7, v7, v8
	v_cmp_ne_u32_e32 vcc, v7, v3
	v_cndmask_b32_e64 v3, 0, 1, vcc
	v_add_u32_e32 v7, 0xfffffc10, v4
	v_or_b32_e32 v3, v8, v3
	v_lshl_or_b32 v4, v7, 12, v5
	v_cmp_gt_i32_e32 vcc, 1, v7
	v_cndmask_b32_e32 v3, v4, v3, vcc
	v_and_b32_e32 v4, 7, v3
	v_cmp_lt_i32_e32 vcc, 5, v4
	v_cmp_eq_u32_e64 s[0:1], 3, v4
	v_lshrrev_b32_e32 v3, 2, v3
	s_or_b64 vcc, s[0:1], vcc
	v_addc_co_u32_e32 v8, vcc, 0, v3, vcc
	ds_read2_b32 v[3:4], v19 offset0:100 offset1:125
	v_cmp_gt_i32_e32 vcc, 31, v7
	v_cndmask_b32_e32 v8, v0, v8, vcc
	v_cmp_ne_u32_e32 vcc, 0, v5
	v_cndmask_b32_e64 v5, 0, 1, vcc
	s_waitcnt lgkmcnt(0)
	v_lshrrev_b32_e32 v10, 16, v3
	v_mul_f16_sdwa v11, v23, v10 dst_sel:DWORD dst_unused:UNUSED_PAD src0_sel:WORD_1 src1_sel:DWORD
	v_fma_f16 v11, v23, v3, v11
	v_cvt_f32_f16_e32 v11, v11
	v_lshl_or_b32 v5, v5, 9, v0
	v_cmp_eq_u32_e32 vcc, s10, v7
	v_cndmask_b32_e32 v5, v8, v5, vcc
	v_cvt_f64_f32_e32 v[7:8], v11
	v_lshrrev_b32_e32 v6, 16, v6
	v_and_or_b32 v11, v6, s11, v5
	v_add_co_u32_e32 v1, vcc, s5, v1
	v_mul_f64 v[5:6], v[7:8], s[2:3]
	v_mov_b32_e32 v8, s4
	v_and_b32_e32 v9, 0xffff, v9
	v_addc_co_u32_e32 v2, vcc, v2, v8, vcc
	v_lshl_or_b32 v7, v11, 16, v9
	global_store_dword v[1:2], v7, off
	v_mul_f16_sdwa v3, v23, v3 dst_sel:DWORD dst_unused:UNUSED_PAD src0_sel:WORD_1 src1_sel:DWORD
	v_and_or_b32 v5, v6, s6, v5
	v_cmp_ne_u32_e32 vcc, 0, v5
	v_cndmask_b32_e64 v5, 0, 1, vcc
	v_lshrrev_b32_e32 v7, 8, v6
	v_bfe_u32 v8, v6, 20, 11
	v_and_or_b32 v5, v7, s7, v5
	v_sub_u32_e32 v9, 0x3f1, v8
	v_or_b32_e32 v7, 0x1000, v5
	v_med3_i32 v9, v9, 0, 13
	v_lshrrev_b32_e32 v11, v9, v7
	v_lshlrev_b32_e32 v9, v9, v11
	v_cmp_ne_u32_e32 vcc, v9, v7
	v_fma_f16 v3, v23, v10, -v3
	v_cndmask_b32_e64 v7, 0, 1, vcc
	v_add_u32_e32 v9, 0xfffffc10, v8
	v_cvt_f32_f16_e32 v3, v3
	v_or_b32_e32 v7, v11, v7
	v_lshl_or_b32 v8, v9, 12, v5
	v_cmp_gt_i32_e32 vcc, 1, v9
	v_cndmask_b32_e32 v7, v8, v7, vcc
	v_and_b32_e32 v8, 7, v7
	v_cmp_lt_i32_e32 vcc, 5, v8
	v_cmp_eq_u32_e64 s[0:1], 3, v8
	v_lshrrev_b32_e32 v10, 2, v7
	v_cvt_f64_f32_e32 v[7:8], v3
	s_or_b64 vcc, s[0:1], vcc
	v_addc_co_u32_e32 v3, vcc, 0, v10, vcc
	v_mul_f64 v[7:8], v[7:8], s[2:3]
	v_cmp_gt_i32_e32 vcc, 31, v9
	v_cndmask_b32_e32 v3, v0, v3, vcc
	v_cmp_ne_u32_e32 vcc, 0, v5
	v_cndmask_b32_e64 v5, 0, 1, vcc
	v_lshl_or_b32 v5, v5, 9, v0
	v_cmp_eq_u32_e32 vcc, s10, v9
	v_cndmask_b32_e32 v3, v3, v5, vcc
	v_lshrrev_b32_e32 v5, 16, v6
	v_and_or_b32 v3, v5, s11, v3
	v_and_or_b32 v5, v8, s6, v7
	v_cmp_ne_u32_e32 vcc, 0, v5
	v_cndmask_b32_e64 v5, 0, 1, vcc
	v_lshrrev_b32_e32 v6, 8, v8
	v_bfe_u32 v7, v8, 20, 11
	v_and_or_b32 v5, v6, s7, v5
	v_sub_u32_e32 v9, 0x3f1, v7
	v_or_b32_e32 v6, 0x1000, v5
	v_med3_i32 v9, v9, 0, 13
	v_lshrrev_b32_e32 v10, v9, v6
	v_lshlrev_b32_e32 v9, v9, v10
	v_cmp_ne_u32_e32 vcc, v9, v6
	v_cndmask_b32_e64 v6, 0, 1, vcc
	v_add_u32_e32 v7, 0xfffffc10, v7
	v_or_b32_e32 v6, v10, v6
	v_lshl_or_b32 v9, v7, 12, v5
	v_cmp_gt_i32_e32 vcc, 1, v7
	v_cndmask_b32_e32 v6, v9, v6, vcc
	v_and_b32_e32 v9, 7, v6
	v_cmp_lt_i32_e32 vcc, 5, v9
	v_cmp_eq_u32_e64 s[0:1], 3, v9
	v_lshrrev_b32_e32 v9, 16, v4
	v_lshrrev_b32_e32 v6, 2, v6
	s_or_b64 vcc, s[0:1], vcc
	v_mul_f16_sdwa v10, v22, v9 dst_sel:DWORD dst_unused:UNUSED_PAD src0_sel:WORD_1 src1_sel:DWORD
	v_addc_co_u32_e32 v6, vcc, 0, v6, vcc
	v_fma_f16 v10, v22, v4, v10
	v_cmp_gt_i32_e32 vcc, 31, v7
	v_cvt_f32_f16_e32 v10, v10
	v_cndmask_b32_e32 v6, v0, v6, vcc
	v_cmp_ne_u32_e32 vcc, 0, v5
	v_cndmask_b32_e64 v5, 0, 1, vcc
	v_lshl_or_b32 v5, v5, 9, v0
	v_cmp_eq_u32_e32 vcc, s10, v7
	v_cndmask_b32_e32 v7, v6, v5, vcc
	v_cvt_f64_f32_e32 v[5:6], v10
	v_lshrrev_b32_e32 v8, 16, v8
	v_and_or_b32 v7, v8, s11, v7
	v_and_b32_e32 v3, 0xffff, v3
	v_mul_f64 v[5:6], v[5:6], s[2:3]
	v_lshl_or_b32 v3, v7, 16, v3
	v_mov_b32_e32 v7, s4
	v_add_co_u32_e32 v1, vcc, s5, v1
	v_addc_co_u32_e32 v2, vcc, v2, v7, vcc
	global_store_dword v[1:2], v3, off
	v_and_or_b32 v3, v6, s6, v5
	v_cmp_ne_u32_e32 vcc, 0, v3
	v_cndmask_b32_e64 v3, 0, 1, vcc
	v_lshrrev_b32_e32 v5, 8, v6
	v_bfe_u32 v7, v6, 20, 11
	v_and_or_b32 v5, v5, s7, v3
	v_sub_u32_e32 v8, 0x3f1, v7
	v_or_b32_e32 v3, 0x1000, v5
	v_med3_i32 v8, v8, 0, 13
	v_lshrrev_b32_e32 v10, v8, v3
	v_lshlrev_b32_e32 v8, v8, v10
	v_mul_f16_sdwa v4, v22, v4 dst_sel:DWORD dst_unused:UNUSED_PAD src0_sel:WORD_1 src1_sel:DWORD
	v_cmp_ne_u32_e32 vcc, v8, v3
	v_fma_f16 v4, v22, v9, -v4
	v_cndmask_b32_e64 v3, 0, 1, vcc
	v_add_u32_e32 v7, 0xfffffc10, v7
	v_cvt_f32_f16_e32 v4, v4
	v_or_b32_e32 v3, v10, v3
	v_lshl_or_b32 v8, v7, 12, v5
	v_cmp_gt_i32_e32 vcc, 1, v7
	v_cndmask_b32_e32 v3, v8, v3, vcc
	v_and_b32_e32 v8, 7, v3
	v_cmp_lt_i32_e32 vcc, 5, v8
	v_cmp_eq_u32_e64 s[0:1], 3, v8
	v_lshrrev_b32_e32 v8, 2, v3
	v_cvt_f64_f32_e32 v[3:4], v4
	s_or_b64 vcc, s[0:1], vcc
	v_addc_co_u32_e32 v8, vcc, 0, v8, vcc
	v_mul_f64 v[3:4], v[3:4], s[2:3]
	v_cmp_gt_i32_e32 vcc, 31, v7
	v_cndmask_b32_e32 v8, v0, v8, vcc
	v_cmp_ne_u32_e32 vcc, 0, v5
	v_cndmask_b32_e64 v5, 0, 1, vcc
	v_lshl_or_b32 v5, v5, 9, v0
	v_cmp_eq_u32_e32 vcc, s10, v7
	v_cndmask_b32_e32 v5, v8, v5, vcc
	v_and_or_b32 v3, v4, s6, v3
	v_lshrrev_b32_e32 v6, 16, v6
	v_cmp_ne_u32_e32 vcc, 0, v3
	v_and_or_b32 v9, v6, s11, v5
	v_cndmask_b32_e64 v3, 0, 1, vcc
	v_lshrrev_b32_e32 v5, 8, v4
	v_bfe_u32 v6, v4, 20, 11
	v_and_or_b32 v3, v5, s7, v3
	v_sub_u32_e32 v7, 0x3f1, v6
	v_or_b32_e32 v5, 0x1000, v3
	v_med3_i32 v7, v7, 0, 13
	v_lshrrev_b32_e32 v8, v7, v5
	v_lshlrev_b32_e32 v7, v7, v8
	v_cmp_ne_u32_e32 vcc, v7, v5
	v_cndmask_b32_e64 v5, 0, 1, vcc
	v_add_u32_e32 v7, 0xfffffc10, v6
	v_or_b32_e32 v5, v8, v5
	v_lshl_or_b32 v6, v7, 12, v3
	v_cmp_gt_i32_e32 vcc, 1, v7
	v_cndmask_b32_e32 v5, v6, v5, vcc
	v_and_b32_e32 v6, 7, v5
	v_cmp_lt_i32_e32 vcc, 5, v6
	v_cmp_eq_u32_e64 s[0:1], 3, v6
	v_lshrrev_b32_e32 v5, 2, v5
	s_or_b64 vcc, s[0:1], vcc
	v_addc_co_u32_e32 v8, vcc, 0, v5, vcc
	ds_read2_b32 v[5:6], v19 offset0:150 offset1:175
	v_cmp_gt_i32_e32 vcc, 31, v7
	v_cndmask_b32_e32 v8, v0, v8, vcc
	v_cmp_ne_u32_e32 vcc, 0, v3
	v_cndmask_b32_e64 v3, 0, 1, vcc
	s_waitcnt lgkmcnt(0)
	v_lshrrev_b32_e32 v10, 16, v5
	v_mul_f16_sdwa v11, v21, v10 dst_sel:DWORD dst_unused:UNUSED_PAD src0_sel:WORD_1 src1_sel:DWORD
	v_fma_f16 v11, v21, v5, v11
	v_cvt_f32_f16_e32 v11, v11
	v_lshl_or_b32 v3, v3, 9, v0
	v_cmp_eq_u32_e32 vcc, s10, v7
	v_cndmask_b32_e32 v3, v8, v3, vcc
	v_cvt_f64_f32_e32 v[7:8], v11
	v_lshrrev_b32_e32 v4, 16, v4
	v_and_or_b32 v11, v4, s11, v3
	v_add_co_u32_e32 v1, vcc, s5, v1
	v_mul_f64 v[3:4], v[7:8], s[2:3]
	v_mov_b32_e32 v8, s4
	v_and_b32_e32 v9, 0xffff, v9
	v_addc_co_u32_e32 v2, vcc, v2, v8, vcc
	v_lshl_or_b32 v7, v11, 16, v9
	global_store_dword v[1:2], v7, off
	v_mul_f16_sdwa v5, v21, v5 dst_sel:DWORD dst_unused:UNUSED_PAD src0_sel:WORD_1 src1_sel:DWORD
	v_and_or_b32 v3, v4, s6, v3
	v_cmp_ne_u32_e32 vcc, 0, v3
	v_cndmask_b32_e64 v3, 0, 1, vcc
	v_lshrrev_b32_e32 v7, 8, v4
	v_bfe_u32 v8, v4, 20, 11
	v_and_or_b32 v3, v7, s7, v3
	v_sub_u32_e32 v9, 0x3f1, v8
	v_or_b32_e32 v7, 0x1000, v3
	v_med3_i32 v9, v9, 0, 13
	v_lshrrev_b32_e32 v11, v9, v7
	v_lshlrev_b32_e32 v9, v9, v11
	v_cmp_ne_u32_e32 vcc, v9, v7
	v_fma_f16 v5, v21, v10, -v5
	v_cndmask_b32_e64 v7, 0, 1, vcc
	v_add_u32_e32 v9, 0xfffffc10, v8
	v_cvt_f32_f16_e32 v5, v5
	v_or_b32_e32 v7, v11, v7
	v_lshl_or_b32 v8, v9, 12, v3
	v_cmp_gt_i32_e32 vcc, 1, v9
	v_cndmask_b32_e32 v7, v8, v7, vcc
	v_and_b32_e32 v8, 7, v7
	v_cmp_lt_i32_e32 vcc, 5, v8
	v_cmp_eq_u32_e64 s[0:1], 3, v8
	v_lshrrev_b32_e32 v10, 2, v7
	v_cvt_f64_f32_e32 v[7:8], v5
	s_or_b64 vcc, s[0:1], vcc
	v_addc_co_u32_e32 v5, vcc, 0, v10, vcc
	v_mul_f64 v[7:8], v[7:8], s[2:3]
	v_cmp_gt_i32_e32 vcc, 31, v9
	v_cndmask_b32_e32 v5, v0, v5, vcc
	v_cmp_ne_u32_e32 vcc, 0, v3
	v_cndmask_b32_e64 v3, 0, 1, vcc
	v_lshl_or_b32 v3, v3, 9, v0
	v_cmp_eq_u32_e32 vcc, s10, v9
	v_cndmask_b32_e32 v3, v5, v3, vcc
	v_lshrrev_b32_e32 v4, 16, v4
	v_and_or_b32 v5, v4, s11, v3
	v_and_or_b32 v3, v8, s6, v7
	v_cmp_ne_u32_e32 vcc, 0, v3
	v_cndmask_b32_e64 v3, 0, 1, vcc
	v_lshrrev_b32_e32 v4, 8, v8
	v_bfe_u32 v7, v8, 20, 11
	v_and_or_b32 v3, v4, s7, v3
	v_sub_u32_e32 v9, 0x3f1, v7
	v_or_b32_e32 v4, 0x1000, v3
	v_med3_i32 v9, v9, 0, 13
	v_lshrrev_b32_e32 v10, v9, v4
	v_lshlrev_b32_e32 v9, v9, v10
	v_cmp_ne_u32_e32 vcc, v9, v4
	v_cndmask_b32_e64 v4, 0, 1, vcc
	v_add_u32_e32 v7, 0xfffffc10, v7
	v_or_b32_e32 v4, v10, v4
	v_lshl_or_b32 v9, v7, 12, v3
	v_cmp_gt_i32_e32 vcc, 1, v7
	v_cndmask_b32_e32 v4, v9, v4, vcc
	v_and_b32_e32 v9, 7, v4
	v_cmp_lt_i32_e32 vcc, 5, v9
	v_cmp_eq_u32_e64 s[0:1], 3, v9
	v_lshrrev_b32_e32 v9, 16, v6
	v_lshrrev_b32_e32 v4, 2, v4
	s_or_b64 vcc, s[0:1], vcc
	v_mul_f16_sdwa v10, v20, v9 dst_sel:DWORD dst_unused:UNUSED_PAD src0_sel:WORD_1 src1_sel:DWORD
	v_addc_co_u32_e32 v4, vcc, 0, v4, vcc
	v_fma_f16 v10, v20, v6, v10
	v_cmp_gt_i32_e32 vcc, 31, v7
	v_cvt_f32_f16_e32 v10, v10
	v_cndmask_b32_e32 v4, v0, v4, vcc
	v_cmp_ne_u32_e32 vcc, 0, v3
	v_cndmask_b32_e64 v3, 0, 1, vcc
	v_lshl_or_b32 v3, v3, 9, v0
	v_cmp_eq_u32_e32 vcc, s10, v7
	v_cndmask_b32_e32 v7, v4, v3, vcc
	v_cvt_f64_f32_e32 v[3:4], v10
	v_lshrrev_b32_e32 v8, 16, v8
	v_and_or_b32 v7, v8, s11, v7
	v_and_b32_e32 v5, 0xffff, v5
	v_mul_f64 v[3:4], v[3:4], s[2:3]
	v_lshl_or_b32 v5, v7, 16, v5
	v_mov_b32_e32 v7, s4
	v_add_co_u32_e32 v1, vcc, s5, v1
	v_addc_co_u32_e32 v2, vcc, v2, v7, vcc
	global_store_dword v[1:2], v5, off
	v_and_or_b32 v3, v4, s6, v3
	v_cmp_ne_u32_e32 vcc, 0, v3
	v_cndmask_b32_e64 v3, 0, 1, vcc
	v_lshrrev_b32_e32 v5, 8, v4
	v_bfe_u32 v7, v4, 20, 11
	v_and_or_b32 v3, v5, s7, v3
	v_sub_u32_e32 v8, 0x3f1, v7
	v_or_b32_e32 v5, 0x1000, v3
	v_med3_i32 v8, v8, 0, 13
	v_lshrrev_b32_e32 v10, v8, v5
	v_lshlrev_b32_e32 v8, v8, v10
	v_mul_f16_sdwa v6, v20, v6 dst_sel:DWORD dst_unused:UNUSED_PAD src0_sel:WORD_1 src1_sel:DWORD
	v_cmp_ne_u32_e32 vcc, v8, v5
	v_fma_f16 v6, v20, v9, -v6
	v_cndmask_b32_e64 v5, 0, 1, vcc
	v_add_u32_e32 v7, 0xfffffc10, v7
	v_cvt_f32_f16_e32 v6, v6
	v_or_b32_e32 v5, v10, v5
	v_lshl_or_b32 v8, v7, 12, v3
	v_cmp_gt_i32_e32 vcc, 1, v7
	v_cndmask_b32_e32 v5, v8, v5, vcc
	v_and_b32_e32 v8, 7, v5
	v_cmp_lt_i32_e32 vcc, 5, v8
	v_cmp_eq_u32_e64 s[0:1], 3, v8
	v_lshrrev_b32_e32 v8, 2, v5
	v_cvt_f64_f32_e32 v[5:6], v6
	s_or_b64 vcc, s[0:1], vcc
	v_addc_co_u32_e32 v8, vcc, 0, v8, vcc
	v_mul_f64 v[5:6], v[5:6], s[2:3]
	v_cmp_gt_i32_e32 vcc, 31, v7
	v_cndmask_b32_e32 v8, v0, v8, vcc
	v_cmp_ne_u32_e32 vcc, 0, v3
	v_cndmask_b32_e64 v3, 0, 1, vcc
	v_lshl_or_b32 v3, v3, 9, v0
	v_cmp_eq_u32_e32 vcc, s10, v7
	v_cndmask_b32_e32 v3, v8, v3, vcc
	v_lshrrev_b32_e32 v4, 16, v4
	v_and_or_b32 v9, v4, s11, v3
	v_and_or_b32 v3, v6, s6, v5
	v_cmp_ne_u32_e32 vcc, 0, v3
	v_cndmask_b32_e64 v3, 0, 1, vcc
	v_lshrrev_b32_e32 v4, 8, v6
	v_and_or_b32 v5, v4, s7, v3
	v_bfe_u32 v4, v6, 20, 11
	v_sub_u32_e32 v7, 0x3f1, v4
	v_or_b32_e32 v3, 0x1000, v5
	v_med3_i32 v7, v7, 0, 13
	v_lshrrev_b32_e32 v8, v7, v3
	v_lshlrev_b32_e32 v7, v7, v8
	v_cmp_ne_u32_e32 vcc, v7, v3
	v_cndmask_b32_e64 v3, 0, 1, vcc
	v_add_u32_e32 v7, 0xfffffc10, v4
	v_or_b32_e32 v3, v8, v3
	v_lshl_or_b32 v4, v7, 12, v5
	v_cmp_gt_i32_e32 vcc, 1, v7
	v_cndmask_b32_e32 v3, v4, v3, vcc
	v_and_b32_e32 v4, 7, v3
	v_cmp_lt_i32_e32 vcc, 5, v4
	v_cmp_eq_u32_e64 s[0:1], 3, v4
	v_lshrrev_b32_e32 v3, 2, v3
	s_or_b64 vcc, s[0:1], vcc
	v_addc_co_u32_e32 v8, vcc, 0, v3, vcc
	ds_read2_b32 v[3:4], v19 offset0:200 offset1:225
	v_cmp_gt_i32_e32 vcc, 31, v7
	v_cndmask_b32_e32 v8, v0, v8, vcc
	v_cmp_ne_u32_e32 vcc, 0, v5
	v_cndmask_b32_e64 v5, 0, 1, vcc
	s_waitcnt lgkmcnt(0)
	v_lshrrev_b32_e32 v10, 16, v3
	v_mul_f16_sdwa v11, v18, v10 dst_sel:DWORD dst_unused:UNUSED_PAD src0_sel:WORD_1 src1_sel:DWORD
	v_fma_f16 v11, v18, v3, v11
	v_cvt_f32_f16_e32 v11, v11
	v_lshl_or_b32 v5, v5, 9, v0
	v_cmp_eq_u32_e32 vcc, s10, v7
	v_cndmask_b32_e32 v5, v8, v5, vcc
	v_cvt_f64_f32_e32 v[7:8], v11
	v_lshrrev_b32_e32 v6, 16, v6
	v_and_or_b32 v11, v6, s11, v5
	v_add_co_u32_e32 v1, vcc, s5, v1
	v_mul_f64 v[5:6], v[7:8], s[2:3]
	v_mov_b32_e32 v8, s4
	v_and_b32_e32 v9, 0xffff, v9
	v_addc_co_u32_e32 v2, vcc, v2, v8, vcc
	v_lshl_or_b32 v7, v11, 16, v9
	global_store_dword v[1:2], v7, off
	v_mul_f16_sdwa v3, v18, v3 dst_sel:DWORD dst_unused:UNUSED_PAD src0_sel:WORD_1 src1_sel:DWORD
	v_and_or_b32 v5, v6, s6, v5
	v_cmp_ne_u32_e32 vcc, 0, v5
	v_cndmask_b32_e64 v5, 0, 1, vcc
	v_lshrrev_b32_e32 v7, 8, v6
	v_bfe_u32 v8, v6, 20, 11
	v_and_or_b32 v5, v7, s7, v5
	v_sub_u32_e32 v9, 0x3f1, v8
	v_or_b32_e32 v7, 0x1000, v5
	v_med3_i32 v9, v9, 0, 13
	v_lshrrev_b32_e32 v11, v9, v7
	v_lshlrev_b32_e32 v9, v9, v11
	v_cmp_ne_u32_e32 vcc, v9, v7
	v_fma_f16 v3, v18, v10, -v3
	v_cndmask_b32_e64 v7, 0, 1, vcc
	v_add_u32_e32 v9, 0xfffffc10, v8
	v_cvt_f32_f16_e32 v3, v3
	v_or_b32_e32 v7, v11, v7
	v_lshl_or_b32 v8, v9, 12, v5
	v_cmp_gt_i32_e32 vcc, 1, v9
	v_cndmask_b32_e32 v7, v8, v7, vcc
	v_and_b32_e32 v8, 7, v7
	v_cmp_lt_i32_e32 vcc, 5, v8
	v_cmp_eq_u32_e64 s[0:1], 3, v8
	v_lshrrev_b32_e32 v10, 2, v7
	v_cvt_f64_f32_e32 v[7:8], v3
	s_or_b64 vcc, s[0:1], vcc
	v_addc_co_u32_e32 v3, vcc, 0, v10, vcc
	v_mul_f64 v[7:8], v[7:8], s[2:3]
	v_cmp_gt_i32_e32 vcc, 31, v9
	v_cndmask_b32_e32 v3, v0, v3, vcc
	v_cmp_ne_u32_e32 vcc, 0, v5
	v_cndmask_b32_e64 v5, 0, 1, vcc
	v_lshl_or_b32 v5, v5, 9, v0
	v_cmp_eq_u32_e32 vcc, s10, v9
	v_cndmask_b32_e32 v3, v3, v5, vcc
	v_lshrrev_b32_e32 v5, 16, v6
	v_and_or_b32 v3, v5, s11, v3
	v_and_or_b32 v5, v8, s6, v7
	v_cmp_ne_u32_e32 vcc, 0, v5
	v_cndmask_b32_e64 v5, 0, 1, vcc
	v_lshrrev_b32_e32 v6, 8, v8
	v_bfe_u32 v7, v8, 20, 11
	v_and_or_b32 v5, v6, s7, v5
	v_sub_u32_e32 v9, 0x3f1, v7
	v_or_b32_e32 v6, 0x1000, v5
	v_med3_i32 v9, v9, 0, 13
	v_lshrrev_b32_e32 v10, v9, v6
	v_lshlrev_b32_e32 v9, v9, v10
	v_cmp_ne_u32_e32 vcc, v9, v6
	v_cndmask_b32_e64 v6, 0, 1, vcc
	v_add_u32_e32 v7, 0xfffffc10, v7
	v_or_b32_e32 v6, v10, v6
	v_lshl_or_b32 v9, v7, 12, v5
	v_cmp_gt_i32_e32 vcc, 1, v7
	v_cndmask_b32_e32 v6, v9, v6, vcc
	v_and_b32_e32 v9, 7, v6
	v_cmp_lt_i32_e32 vcc, 5, v9
	v_cmp_eq_u32_e64 s[0:1], 3, v9
	v_lshrrev_b32_e32 v9, 16, v4
	v_lshrrev_b32_e32 v6, 2, v6
	s_or_b64 vcc, s[0:1], vcc
	v_mul_f16_sdwa v10, v17, v9 dst_sel:DWORD dst_unused:UNUSED_PAD src0_sel:WORD_1 src1_sel:DWORD
	v_addc_co_u32_e32 v6, vcc, 0, v6, vcc
	v_fma_f16 v10, v17, v4, v10
	v_cmp_gt_i32_e32 vcc, 31, v7
	v_cvt_f32_f16_e32 v10, v10
	v_cndmask_b32_e32 v6, v0, v6, vcc
	v_cmp_ne_u32_e32 vcc, 0, v5
	v_cndmask_b32_e64 v5, 0, 1, vcc
	v_lshl_or_b32 v5, v5, 9, v0
	v_cmp_eq_u32_e32 vcc, s10, v7
	v_cndmask_b32_e32 v7, v6, v5, vcc
	v_cvt_f64_f32_e32 v[5:6], v10
	v_lshrrev_b32_e32 v8, 16, v8
	v_and_or_b32 v7, v8, s11, v7
	v_and_b32_e32 v3, 0xffff, v3
	v_mul_f64 v[5:6], v[5:6], s[2:3]
	v_lshl_or_b32 v3, v7, 16, v3
	v_mov_b32_e32 v7, s4
	v_add_co_u32_e32 v1, vcc, s5, v1
	v_addc_co_u32_e32 v2, vcc, v2, v7, vcc
	global_store_dword v[1:2], v3, off
	v_and_or_b32 v3, v6, s6, v5
	v_cmp_ne_u32_e32 vcc, 0, v3
	v_cndmask_b32_e64 v3, 0, 1, vcc
	v_lshrrev_b32_e32 v5, 8, v6
	v_bfe_u32 v7, v6, 20, 11
	v_and_or_b32 v5, v5, s7, v3
	v_sub_u32_e32 v8, 0x3f1, v7
	v_or_b32_e32 v3, 0x1000, v5
	v_med3_i32 v8, v8, 0, 13
	v_lshrrev_b32_e32 v10, v8, v3
	v_lshlrev_b32_e32 v8, v8, v10
	v_mul_f16_sdwa v4, v17, v4 dst_sel:DWORD dst_unused:UNUSED_PAD src0_sel:WORD_1 src1_sel:DWORD
	v_cmp_ne_u32_e32 vcc, v8, v3
	v_fma_f16 v4, v17, v9, -v4
	v_cndmask_b32_e64 v3, 0, 1, vcc
	v_add_u32_e32 v7, 0xfffffc10, v7
	v_cvt_f32_f16_e32 v4, v4
	v_or_b32_e32 v3, v10, v3
	v_lshl_or_b32 v8, v7, 12, v5
	v_cmp_gt_i32_e32 vcc, 1, v7
	v_cndmask_b32_e32 v3, v8, v3, vcc
	v_and_b32_e32 v8, 7, v3
	v_cmp_lt_i32_e32 vcc, 5, v8
	v_cmp_eq_u32_e64 s[0:1], 3, v8
	v_lshrrev_b32_e32 v8, 2, v3
	v_cvt_f64_f32_e32 v[3:4], v4
	s_or_b64 vcc, s[0:1], vcc
	v_addc_co_u32_e32 v8, vcc, 0, v8, vcc
	v_mul_f64 v[3:4], v[3:4], s[2:3]
	v_cmp_gt_i32_e32 vcc, 31, v7
	v_cndmask_b32_e32 v8, v0, v8, vcc
	v_cmp_ne_u32_e32 vcc, 0, v5
	v_cndmask_b32_e64 v5, 0, 1, vcc
	v_lshl_or_b32 v5, v5, 9, v0
	v_cmp_eq_u32_e32 vcc, s10, v7
	v_cndmask_b32_e32 v5, v8, v5, vcc
	v_and_or_b32 v3, v4, s6, v3
	v_lshrrev_b32_e32 v6, 16, v6
	v_cmp_ne_u32_e32 vcc, 0, v3
	v_and_or_b32 v5, v6, s11, v5
	v_cndmask_b32_e64 v3, 0, 1, vcc
	v_lshrrev_b32_e32 v6, 8, v4
	v_bfe_u32 v7, v4, 20, 11
	v_and_or_b32 v3, v6, s7, v3
	v_sub_u32_e32 v8, 0x3f1, v7
	v_or_b32_e32 v6, 0x1000, v3
	v_med3_i32 v8, v8, 0, 13
	v_lshrrev_b32_e32 v9, v8, v6
	v_lshlrev_b32_e32 v8, v8, v9
	v_cmp_ne_u32_e32 vcc, v8, v6
	v_cndmask_b32_e64 v6, 0, 1, vcc
	v_add_u32_e32 v7, 0xfffffc10, v7
	v_or_b32_e32 v6, v9, v6
	v_lshl_or_b32 v8, v7, 12, v3
	v_cmp_gt_i32_e32 vcc, 1, v7
	v_cndmask_b32_e32 v6, v8, v6, vcc
	v_and_b32_e32 v8, 7, v6
	v_cmp_lt_i32_e32 vcc, 5, v8
	v_cmp_eq_u32_e64 s[0:1], 3, v8
	v_lshrrev_b32_e32 v6, 2, v6
	s_or_b64 vcc, s[0:1], vcc
	v_addc_co_u32_e32 v6, vcc, 0, v6, vcc
	v_cmp_gt_i32_e32 vcc, 31, v7
	v_cndmask_b32_e32 v6, v0, v6, vcc
	v_cmp_ne_u32_e32 vcc, 0, v3
	v_cndmask_b32_e64 v3, 0, 1, vcc
	v_lshl_or_b32 v0, v3, 9, v0
	v_cmp_eq_u32_e32 vcc, s10, v7
	v_cndmask_b32_e32 v0, v6, v0, vcc
	v_lshrrev_b32_e32 v3, 16, v4
	v_and_or_b32 v0, v3, s11, v0
	v_and_b32_e32 v3, 0xffff, v5
	v_lshl_or_b32 v3, v0, 16, v3
	v_mov_b32_e32 v4, s4
	v_add_co_u32_e32 v0, vcc, s5, v1
	v_addc_co_u32_e32 v1, vcc, v2, v4, vcc
	global_store_dword v[0:1], v3, off
.LBB0_2:
	s_endpgm
	.section	.rodata,"a",@progbits
	.p2align	6, 0x0
	.amdhsa_kernel bluestein_single_back_len250_dim1_half_op_CI_CI
		.amdhsa_group_segment_fixed_size 5000
		.amdhsa_private_segment_fixed_size 0
		.amdhsa_kernarg_size 104
		.amdhsa_user_sgpr_count 6
		.amdhsa_user_sgpr_private_segment_buffer 1
		.amdhsa_user_sgpr_dispatch_ptr 0
		.amdhsa_user_sgpr_queue_ptr 0
		.amdhsa_user_sgpr_kernarg_segment_ptr 1
		.amdhsa_user_sgpr_dispatch_id 0
		.amdhsa_user_sgpr_flat_scratch_init 0
		.amdhsa_user_sgpr_private_segment_size 0
		.amdhsa_uses_dynamic_stack 0
		.amdhsa_system_sgpr_private_segment_wavefront_offset 0
		.amdhsa_system_sgpr_workgroup_id_x 1
		.amdhsa_system_sgpr_workgroup_id_y 0
		.amdhsa_system_sgpr_workgroup_id_z 0
		.amdhsa_system_sgpr_workgroup_info 0
		.amdhsa_system_vgpr_workitem_id 0
		.amdhsa_next_free_vgpr 60
		.amdhsa_next_free_sgpr 20
		.amdhsa_reserve_vcc 1
		.amdhsa_reserve_flat_scratch 0
		.amdhsa_float_round_mode_32 0
		.amdhsa_float_round_mode_16_64 0
		.amdhsa_float_denorm_mode_32 3
		.amdhsa_float_denorm_mode_16_64 3
		.amdhsa_dx10_clamp 1
		.amdhsa_ieee_mode 1
		.amdhsa_fp16_overflow 0
		.amdhsa_exception_fp_ieee_invalid_op 0
		.amdhsa_exception_fp_denorm_src 0
		.amdhsa_exception_fp_ieee_div_zero 0
		.amdhsa_exception_fp_ieee_overflow 0
		.amdhsa_exception_fp_ieee_underflow 0
		.amdhsa_exception_fp_ieee_inexact 0
		.amdhsa_exception_int_div_zero 0
	.end_amdhsa_kernel
	.text
.Lfunc_end0:
	.size	bluestein_single_back_len250_dim1_half_op_CI_CI, .Lfunc_end0-bluestein_single_back_len250_dim1_half_op_CI_CI
                                        ; -- End function
	.section	.AMDGPU.csdata,"",@progbits
; Kernel info:
; codeLenInByte = 13872
; NumSgprs: 24
; NumVgprs: 60
; ScratchSize: 0
; MemoryBound: 0
; FloatMode: 240
; IeeeMode: 1
; LDSByteSize: 5000 bytes/workgroup (compile time only)
; SGPRBlocks: 2
; VGPRBlocks: 14
; NumSGPRsForWavesPerEU: 24
; NumVGPRsForWavesPerEU: 60
; Occupancy: 4
; WaveLimiterHint : 1
; COMPUTE_PGM_RSRC2:SCRATCH_EN: 0
; COMPUTE_PGM_RSRC2:USER_SGPR: 6
; COMPUTE_PGM_RSRC2:TRAP_HANDLER: 0
; COMPUTE_PGM_RSRC2:TGID_X_EN: 1
; COMPUTE_PGM_RSRC2:TGID_Y_EN: 0
; COMPUTE_PGM_RSRC2:TGID_Z_EN: 0
; COMPUTE_PGM_RSRC2:TIDIG_COMP_CNT: 0
	.type	__hip_cuid_e0175e68fee41131,@object ; @__hip_cuid_e0175e68fee41131
	.section	.bss,"aw",@nobits
	.globl	__hip_cuid_e0175e68fee41131
__hip_cuid_e0175e68fee41131:
	.byte	0                               ; 0x0
	.size	__hip_cuid_e0175e68fee41131, 1

	.ident	"AMD clang version 19.0.0git (https://github.com/RadeonOpenCompute/llvm-project roc-6.4.0 25133 c7fe45cf4b819c5991fe208aaa96edf142730f1d)"
	.section	".note.GNU-stack","",@progbits
	.addrsig
	.addrsig_sym __hip_cuid_e0175e68fee41131
	.amdgpu_metadata
---
amdhsa.kernels:
  - .args:
      - .actual_access:  read_only
        .address_space:  global
        .offset:         0
        .size:           8
        .value_kind:     global_buffer
      - .actual_access:  read_only
        .address_space:  global
        .offset:         8
        .size:           8
        .value_kind:     global_buffer
      - .actual_access:  read_only
        .address_space:  global
        .offset:         16
        .size:           8
        .value_kind:     global_buffer
      - .actual_access:  read_only
        .address_space:  global
        .offset:         24
        .size:           8
        .value_kind:     global_buffer
      - .actual_access:  read_only
        .address_space:  global
        .offset:         32
        .size:           8
        .value_kind:     global_buffer
      - .offset:         40
        .size:           8
        .value_kind:     by_value
      - .address_space:  global
        .offset:         48
        .size:           8
        .value_kind:     global_buffer
      - .address_space:  global
        .offset:         56
        .size:           8
        .value_kind:     global_buffer
      - .address_space:  global
        .offset:         64
        .size:           8
        .value_kind:     global_buffer
      - .address_space:  global
        .offset:         72
        .size:           8
        .value_kind:     global_buffer
      - .offset:         80
        .size:           4
        .value_kind:     by_value
      - .address_space:  global
        .offset:         88
        .size:           8
        .value_kind:     global_buffer
      - .address_space:  global
        .offset:         96
        .size:           8
        .value_kind:     global_buffer
    .group_segment_fixed_size: 5000
    .kernarg_segment_align: 8
    .kernarg_segment_size: 104
    .language:       OpenCL C
    .language_version:
      - 2
      - 0
    .max_flat_workgroup_size: 125
    .name:           bluestein_single_back_len250_dim1_half_op_CI_CI
    .private_segment_fixed_size: 0
    .sgpr_count:     24
    .sgpr_spill_count: 0
    .symbol:         bluestein_single_back_len250_dim1_half_op_CI_CI.kd
    .uniform_work_group_size: 1
    .uses_dynamic_stack: false
    .vgpr_count:     60
    .vgpr_spill_count: 0
    .wavefront_size: 64
amdhsa.target:   amdgcn-amd-amdhsa--gfx906
amdhsa.version:
  - 1
  - 2
...

	.end_amdgpu_metadata
